;; amdgpu-corpus repo=triton-lang/triton kind=triton arch=gfx1201 opt=O3 lang=triton
	.amdgcn_target "amdgcn-amd-amdhsa--gfx1201"
	.amdhsa_code_object_version 5
	.text
	.globl	_layer_norm_bwd_dwdb            ; -- Begin function _layer_norm_bwd_dwdb
	.p2align	8
	.type	_layer_norm_bwd_dwdb,@function
_layer_norm_bwd_dwdb:                   ; @_layer_norm_bwd_dwdb
.Lfunc_begin0:
	.file	1 "/root/src/amdgpu-assembly/repos/triton-lang__triton-aot" "layer_norm_bwd.py"
	.loc	1 73 0                          ; layer_norm_bwd.py:73:0
	.cfi_sections .debug_frame
	.cfi_startproc
; %bb.0:
	s_clause 0x1
	s_load_b64 s[2:3], s[0:1], 0x20
	s_load_b128 s[8:11], s[0:1], 0x10
.Ltmp0:
	.loc	1 96 30 prologue_end            ; layer_norm_bwd.py:96:30
	s_bfe_u32 s6, ttmp8, 0x50019
	.loc	1 82 45                         ; layer_norm_bwd.py:82:45
	v_and_b32_e32 v131, 31, v0
	s_lshl_b32 s4, s6, 5
	scratch_store_b32 off, v0, off offset:280 ; 4-byte Folded Spill
	s_and_b32 s4, s4, 0x60
	.loc	1 82 17 is_stmt 0               ; layer_norm_bwd.py:82:17
	s_lshl_b32 s5, ttmp9, 7
	.loc	1 82 45                         ; layer_norm_bwd.py:82:45
	v_or_b32_e32 v0, s4, v131
                                        ; implicit-def: $vgpr254 : SGPR spill to VGPR lane
	v_writelane_b32 v254, s6, 0
	s_bfe_u32 s6, s6, 0x10002
	s_delay_alu instid0(VALU_DEP_2)
	.loc	1 82 32                         ; layer_norm_bwd.py:82:32
	v_or_b32_e32 v1, s5, v0
	scratch_store_b32 off, v0, off offset:284 ; 4-byte Folded Spill
	v_mov_b32_e32 v0, v1
	.loc	1 86 25 is_stmt 1               ; layer_norm_bwd.py:86:25
	s_wait_kmcnt 0x0
	s_cmp_lt_i32 s2, 1
	.loc	1 88 54                         ; layer_norm_bwd.py:88:54
	v_cmp_gt_i32_e32 vcc_lo, s3, v1
	scratch_store_b64 off, v[0:1], off offset:288 ; 8-byte Folded Spill
	.loc	1 86 25                         ; layer_norm_bwd.py:86:25
	s_cbranch_scc1 .LBB0_260
; %bb.1:                                ; %.lr.ph.preheader
	.loc	1 0 25 is_stmt 0                ; layer_norm_bwd.py:0:25
	v_writelane_b32 v254, s8, 1
	v_dual_mov_b32 v153, 0 :: v_dual_mov_b32 v0, 0
	v_mov_b32_e32 v151, 0
	v_mov_b32_e32 v149, 0
	v_writelane_b32 v254, s9, 2
	v_dual_mov_b32 v193, 0 :: v_dual_mov_b32 v194, 0
	scratch_store_b32 off, v0, off offset:260 ; 4-byte Folded Spill
	v_mov_b32_e32 v0, 0
	v_writelane_b32 v254, s10, 3
	v_dual_mov_b32 v195, 0 :: v_dual_mov_b32 v192, 0
	v_dual_mov_b32 v191, 0 :: v_dual_mov_b32 v190, 0
	v_writelane_b32 v254, s11, 4
	s_load_b128 s[8:11], s[0:1], 0x0
	.loc	1 90 22 is_stmt 1               ; layer_norm_bwd.py:90:22
	s_mul_i32 s0, s3, s6
	s_or_b32 s1, s6, 0x7e
	s_add_co_i32 s0, s0, s5
	s_mul_i32 s1, s3, s1
	s_add_co_i32 s7, s0, s4
	s_add_co_i32 s0, s1, s5
	s_or_b32 s1, s6, 0x7a
	s_add_co_i32 s0, s0, s4
	s_mul_i32 s1, s3, s1
	v_writelane_b32 v254, s0, 5
	s_or_b32 s0, s6, 0x7c
	s_add_co_i32 s1, s1, s5
	s_wait_alu depctr_sa_sdst(0)
	s_mul_i32 s0, s3, s0
	scratch_store_b32 off, v0, off offset:256 ; 4-byte Folded Spill
	s_wait_alu depctr_sa_sdst(0)
	s_add_co_i32 s0, s0, s5
	v_mov_b32_e32 v0, 0
	s_wait_alu depctr_sa_sdst(0)
	s_add_co_i32 s0, s0, s4
	v_mov_b32_e32 v5, 0
	s_wait_alu depctr_sa_sdst(0)
	v_writelane_b32 v254, s0, 6
	s_add_co_i32 s0, s1, s4
	s_or_b32 s1, s6, 0x76
	scratch_store_b32 off, v0, off offset:252 ; 4-byte Folded Spill
	s_wait_alu depctr_sa_sdst(0)
	s_mul_i32 s1, s3, s1
	v_writelane_b32 v254, s0, 7
	s_or_b32 s0, s6, 0x78
	s_wait_alu depctr_sa_sdst(0)
	s_add_co_i32 s1, s1, s5
	s_mul_i32 s0, s3, s0
	v_mov_b32_e32 v0, 0
	s_wait_alu depctr_sa_sdst(0)
	s_add_co_i32 s0, s0, s5
	v_mov_b32_e32 v1, 0
	s_wait_alu depctr_sa_sdst(0)
	s_add_co_i32 s0, s0, s4
	v_mov_b32_e32 v253, 0
	s_wait_alu depctr_sa_sdst(0)
	v_writelane_b32 v254, s0, 8
	s_add_co_i32 s0, s1, s4
	s_or_b32 s1, s6, 0x72
	scratch_store_b32 off, v0, off offset:248 ; 4-byte Folded Spill
	s_wait_alu depctr_sa_sdst(0)
	s_mul_i32 s1, s3, s1
	v_writelane_b32 v254, s0, 9
	s_or_b32 s0, s6, 0x74
	s_wait_alu depctr_sa_sdst(0)
	s_add_co_i32 s1, s1, s5
	s_mul_i32 s0, s3, s0
	v_mov_b32_e32 v0, 0
	;; [unrolled: 19-line block ×6, first 2 shown]
	s_wait_alu depctr_sa_sdst(0)
	s_add_co_i32 s0, s0, s5
	v_mov_b32_e32 v235, 0
	s_wait_alu depctr_sa_sdst(0)
	s_add_co_i32 s0, s0, s4
	v_mov_b32_e32 v233, 0
	s_wait_alu depctr_sa_sdst(0)
	v_writelane_b32 v254, s0, 18
	s_add_co_i32 s0, s1, s4
	s_or_b32 s1, s6, 0x5e
	scratch_store_b32 off, v0, off offset:228 ; 4-byte Folded Spill
	s_wait_alu depctr_sa_sdst(0)
	s_mul_i32 s1, s3, s1
	v_writelane_b32 v254, s0, 19
	s_or_b32 s0, s6, 0x60
	s_wait_alu depctr_sa_sdst(0)
	s_add_co_i32 s1, s1, s5
	s_mul_i32 s0, s3, s0
	s_wait_alu depctr_sa_sdst(0)
	s_add_co_i32 s31, s1, s4
	s_add_co_i32 s0, s0, s5
	s_or_b32 s1, s6, 0x5a
	s_wait_alu depctr_sa_sdst(0)
	s_add_co_i32 s0, s0, s4
	s_mul_i32 s1, s3, s1
	s_wait_alu depctr_sa_sdst(0)
	v_writelane_b32 v254, s0, 20
	s_or_b32 s0, s6, 0x5c
	s_add_co_i32 s1, s1, s5
	s_wait_alu depctr_sa_sdst(0)
	s_mul_i32 s0, s3, s0
	s_add_co_i32 s34, s1, s4
	s_wait_alu depctr_sa_sdst(0)
	s_add_co_i32 s0, s0, s5
	s_or_b32 s1, s6, 0x56
	s_wait_alu depctr_sa_sdst(0)
	s_add_co_i32 s33, s0, s4
	s_or_b32 s0, s6, 0x58
	s_mul_i32 s1, s3, s1
	s_wait_alu depctr_sa_sdst(0)
	s_mul_i32 s0, s3, s0
	s_add_co_i32 s1, s1, s5
	s_wait_alu depctr_sa_sdst(0)
	s_add_co_i32 s0, s0, s5
	s_add_co_i32 s36, s1, s4
	s_wait_alu depctr_sa_sdst(0)
	s_add_co_i32 s35, s0, s4
	s_or_b32 s0, s6, 0x54
	s_or_b32 s1, s6, 0x52
	s_wait_alu depctr_sa_sdst(0)
	s_mul_i32 s0, s3, s0
	s_mul_i32 s1, s3, s1
	s_wait_alu depctr_sa_sdst(0)
	s_add_co_i32 s0, s0, s5
	s_add_co_i32 s1, s1, s5
	s_wait_alu depctr_sa_sdst(0)
	s_add_co_i32 s37, s0, s4
	s_add_co_i32 s38, s1, s4
	s_or_b32 s0, s6, 0x50
	s_or_b32 s1, s6, 0x4e
	s_wait_alu depctr_sa_sdst(0)
	s_mul_i32 s0, s3, s0
	s_mul_i32 s1, s3, s1
	s_wait_alu depctr_sa_sdst(0)
	s_add_co_i32 s0, s0, s5
	s_add_co_i32 s1, s1, s5
	s_wait_alu depctr_sa_sdst(0)
	s_add_co_i32 s39, s0, s4
	;; [unrolled: 11-line block ×13, first 2 shown]
	s_add_co_i32 s62, s1, s4
	s_or_b32 s0, s6, 32
	s_or_b32 s1, s6, 30
	s_wait_alu depctr_sa_sdst(0)
	s_mul_i32 s0, s3, s0
	s_mul_i32 s1, s3, s1
	s_wait_alu depctr_sa_sdst(0)
	s_add_co_i32 s0, s0, s5
	s_add_co_i32 s1, s1, s5
	v_mov_b32_e32 v0, 0
	s_wait_alu depctr_sa_sdst(0)
	s_add_co_i32 s63, s0, s4
	s_add_co_i32 s64, s1, s4
	s_or_b32 s0, s6, 28
	s_or_b32 s1, s6, 26
	s_wait_alu depctr_sa_sdst(0)
	s_mul_i32 s0, s3, s0
	s_mul_i32 s1, s3, s1
	s_wait_alu depctr_sa_sdst(0)
	s_add_co_i32 s0, s0, s5
	s_add_co_i32 s1, s1, s5
	scratch_store_b32 off, v0, off offset:224 ; 4-byte Folded Spill
	v_mov_b32_e32 v0, 0
	s_wait_alu depctr_sa_sdst(0)
	s_add_co_i32 s65, s0, s4
	s_add_co_i32 s66, s1, s4
	s_or_b32 s0, s6, 24
	s_or_b32 s1, s6, 22
	s_wait_alu depctr_sa_sdst(0)
	s_mul_i32 s0, s3, s0
	s_mul_i32 s1, s3, s1
	scratch_store_b32 off, v0, off offset:220 ; 4-byte Folded Spill
	v_mov_b32_e32 v0, 0
	s_wait_alu depctr_sa_sdst(0)
	s_add_co_i32 s0, s0, s5
	s_add_co_i32 s1, s1, s5
	s_wait_alu depctr_sa_sdst(0)
	s_add_co_i32 s67, s0, s4
	s_add_co_i32 s68, s1, s4
	s_or_b32 s0, s6, 20
	s_or_b32 s1, s6, 18
	s_wait_alu depctr_sa_sdst(0)
	s_mul_i32 s0, s3, s0
	s_mul_i32 s1, s3, s1
	scratch_store_b32 off, v0, off offset:216 ; 4-byte Folded Spill
	v_mov_b32_e32 v0, 0
	s_wait_alu depctr_sa_sdst(0)
	s_add_co_i32 s0, s0, s5
	s_add_co_i32 s1, s1, s5
	s_wait_alu depctr_sa_sdst(0)
	s_add_co_i32 s69, s0, s4
	s_add_co_i32 s70, s1, s4
	s_or_b32 s0, s6, 16
	s_or_b32 s1, s6, 14
	scratch_store_b32 off, v0, off offset:212 ; 4-byte Folded Spill
	v_mov_b32_e32 v0, 0
	s_wait_alu depctr_sa_sdst(0)
	s_mul_i32 s0, s3, s0
	s_mul_i32 s1, s3, s1
	s_wait_alu depctr_sa_sdst(0)
	s_add_co_i32 s0, s0, s5
	s_add_co_i32 s1, s1, s5
	s_wait_alu depctr_sa_sdst(0)
	s_add_co_i32 s71, s0, s4
	s_add_co_i32 s72, s1, s4
	s_or_b32 s0, s6, 12
	s_or_b32 s1, s6, 10
	scratch_store_b32 off, v0, off offset:208 ; 4-byte Folded Spill
	v_mov_b32_e32 v0, 0
	s_wait_alu depctr_sa_sdst(0)
	s_mul_i32 s0, s3, s0
	s_mul_i32 s1, s3, s1
	s_wait_alu depctr_sa_sdst(0)
	s_add_co_i32 s0, s0, s5
	s_add_co_i32 s1, s1, s5
	scratch_store_b32 off, v0, off offset:204 ; 4-byte Folded Spill
	v_mov_b32_e32 v0, 0
	s_wait_alu depctr_sa_sdst(0)
	s_add_co_i32 s73, s0, s4
	s_add_co_i32 s74, s1, s4
	s_or_b32 s0, s6, 8
	s_or_b32 s1, s6, 6
	s_wait_alu depctr_sa_sdst(0)
	s_mul_i32 s0, s3, s0
	s_mul_i32 s1, s3, s1
	s_wait_alu depctr_sa_sdst(0)
	s_add_co_i32 s0, s0, s5
	s_add_co_i32 s1, s1, s5
	scratch_store_b32 off, v0, off offset:200 ; 4-byte Folded Spill
	v_dual_mov_b32 v0, 0 :: v_dual_mov_b32 v231, 0
	s_wait_alu depctr_sa_sdst(0)
	s_add_co_i32 s75, s0, s4
	s_add_co_i32 s76, s1, s4
	s_or_b32 s0, s6, 4
	s_or_b32 s1, s6, 2
	s_wait_alu depctr_sa_sdst(0)
	s_mul_i32 s0, s3, s0
	s_mul_i32 s1, s3, s1
	v_writelane_b32 v254, s6, 21
	v_dual_mov_b32 v189, 0 :: v_dual_mov_b32 v188, 0
	v_dual_mov_b32 v187, 0 :: v_dual_mov_b32 v186, 0
	;; [unrolled: 1-line block ×19, first 2 shown]
	scratch_store_b32 off, v0, off offset:196 ; 4-byte Folded Spill
	v_dual_mov_b32 v132, 0 :: v_dual_mov_b32 v229, 0
	v_dual_mov_b32 v0, 0 :: v_dual_mov_b32 v227, 0
	;; [unrolled: 1-line block ×17, first 2 shown]
	v_mov_b32_e32 v226, 0
	v_mov_b32_e32 v224, 0
	;; [unrolled: 1-line block ×16, first 2 shown]
	s_wait_alu depctr_sa_sdst(0)
	s_add_co_i32 s0, s0, s5
	s_add_co_i32 s1, s1, s5
	s_lshl_b32 s14, s3, 7
	s_wait_alu depctr_sa_sdst(0)
	s_add_co_i32 s3, s0, s4
	s_add_co_i32 s77, s1, s4
	s_mov_b32 s78, 0
	s_branch .LBB0_3
.LBB0_2:                                ;   in Loop: Header=BB0_3 Depth=1
	.loc	1 0 22 is_stmt 0                ; layer_norm_bwd.py:0:22
	s_wait_alu depctr_sa_sdst(0)
	s_or_b32 exec_lo, exec_lo, s1
	.loc	1 90 14 is_stmt 1               ; layer_norm_bwd.py:90:14
	s_wait_loadcnt 0x0
	v_dual_add_f32 v207, v207, v135 :: v_dual_add_f32 v194, v194, v2
	.loc	1 91 14                         ; layer_norm_bwd.py:91:14
	s_clause 0x1                            ; 8-byte Folded Reload
	scratch_load_b32 v2, off, off offset:260
	scratch_load_b32 v67, off, off th:TH_LOAD_LU
	.loc	1 86 25                         ; layer_norm_bwd.py:86:25
	v_readlane_b32 s0, v254, 5
	v_readlane_b32 s7, v254, 22
	.loc	1 90 14                         ; layer_norm_bwd.py:90:14
	v_dual_add_f32 v196, v196, v7 :: v_dual_add_f32 v149, v149, v48
	.loc	1 91 14                         ; layer_norm_bwd.py:91:14
	v_add_f32_e32 v188, v188, v11
	.loc	1 86 25                         ; layer_norm_bwd.py:86:25
	s_add_co_i32 s0, s0, s14
	.loc	1 91 14                         ; layer_norm_bwd.py:91:14
	v_add_f32_e32 v184, v184, v15
	.loc	1 86 25                         ; layer_norm_bwd.py:86:25
	s_wait_alu depctr_sa_sdst(0)
	v_writelane_b32 v254, s0, 5
	.loc	1 91 14                         ; layer_norm_bwd.py:91:14
	v_add_f32_e32 v180, v180, v19
	v_add_f32_e32 v176, v176, v23
	;; [unrolled: 1-line block ×4, first 2 shown]
	.loc	1 86 25                         ; layer_norm_bwd.py:86:25
	v_readlane_b32 s0, v254, 6
	.loc	1 91 14                         ; layer_norm_bwd.py:91:14
	v_add_f32_e32 v160, v160, v39
	v_add_f32_e32 v156, v156, v43
	;; [unrolled: 1-line block ×3, first 2 shown]
	.loc	1 86 25                         ; layer_norm_bwd.py:86:25
	s_addk_co_i32 s78, 0x80
	s_add_co_i32 s0, s0, s14
	s_add_co_i32 s7, s7, s14
	s_wait_alu depctr_sa_sdst(0)
	v_writelane_b32 v254, s0, 6
	s_add_co_i32 s31, s31, s14
	s_add_co_i32 s33, s33, s14
	s_add_co_i32 s34, s34, s14
	s_add_co_i32 s35, s35, s14
	v_readlane_b32 s0, v254, 7
	s_add_co_i32 s36, s36, s14
	s_add_co_i32 s37, s37, s14
	s_add_co_i32 s38, s38, s14
	s_add_co_i32 s39, s39, s14
	s_add_co_i32 s0, s0, s14
	s_add_co_i32 s40, s40, s14
	s_wait_alu depctr_sa_sdst(0)
	v_writelane_b32 v254, s0, 7
	s_add_co_i32 s41, s41, s14
	s_add_co_i32 s42, s42, s14
	s_add_co_i32 s43, s43, s14
	s_add_co_i32 s44, s44, s14
	v_readlane_b32 s0, v254, 8
	s_add_co_i32 s45, s45, s14
	s_add_co_i32 s46, s46, s14
	s_add_co_i32 s47, s47, s14
	s_add_co_i32 s48, s48, s14
	;; [unrolled: 13-line block ×5, first 2 shown]
	s_add_co_i32 s0, s0, s14
	s_add_co_i32 s76, s76, s14
	s_wait_alu depctr_sa_sdst(0)
	v_writelane_b32 v254, s0, 11
	s_add_co_i32 s3, s3, s14
	s_add_co_i32 s77, s77, s14
	.loc	1 90 14                         ; layer_norm_bwd.py:90:14
	v_add_f32_e32 v205, v205, v137
	v_add_f32_e32 v201, v201, v141
	.loc	1 86 25                         ; layer_norm_bwd.py:86:25
	v_readlane_b32 s0, v254, 12
	.loc	1 90 14                         ; layer_norm_bwd.py:90:14
	v_dual_add_f32 v222, v222, v172 :: v_dual_add_f32 v197, v197, v145
	v_add_f32_e32 v210, v210, v134
	.loc	1 91 14                         ; layer_norm_bwd.py:91:14
	v_add_f32_e32 v193, v193, v146
	.loc	1 86 25                         ; layer_norm_bwd.py:86:25
	s_add_co_i32 s0, s0, s14
	.loc	1 90 14                         ; layer_norm_bwd.py:90:14
	v_add_f32_e32 v208, v208, v136
	.loc	1 86 25                         ; layer_norm_bwd.py:86:25
	s_wait_alu depctr_sa_sdst(0)
	v_writelane_b32 v254, s0, 12
	.loc	1 91 14                         ; layer_norm_bwd.py:91:14
	v_dual_add_f32 v189, v189, v8 :: v_dual_add_f32 v206, v206, v138
	v_dual_add_f32 v187, v187, v10 :: v_dual_add_f32 v204, v204, v140
	s_delay_alu instid0(VALU_DEP_3)
	.loc	1 86 25                         ; layer_norm_bwd.py:86:25
	v_readlane_b32 s0, v254, 13
	.loc	1 91 14                         ; layer_norm_bwd.py:91:14
	v_dual_add_f32 v185, v185, v12 :: v_dual_add_f32 v202, v202, v142
	v_dual_add_f32 v183, v183, v14 :: v_dual_add_f32 v200, v200, v144
	.loc	1 86 25                         ; layer_norm_bwd.py:86:25
	s_add_co_i32 s0, s0, s14
	.loc	1 91 14                         ; layer_norm_bwd.py:91:14
	v_add_f32_e32 v181, v181, v16
	.loc	1 86 25                         ; layer_norm_bwd.py:86:25
	s_wait_alu depctr_sa_sdst(0)
	v_writelane_b32 v254, s0, 13
	.loc	1 90 14                         ; layer_norm_bwd.py:90:14
	v_add_f32_e32 v198, v198, v6
	.loc	1 91 14                         ; layer_norm_bwd.py:91:14
	v_dual_add_f32 v179, v179, v18 :: v_dual_add_f32 v192, v192, v148
	v_add_f32_e32 v177, v177, v20
	s_delay_alu instid0(VALU_DEP_4)
	.loc	1 86 25                         ; layer_norm_bwd.py:86:25
	v_readlane_b32 s0, v254, 14
	.loc	1 91 14                         ; layer_norm_bwd.py:91:14
	v_dual_add_f32 v190, v190, v9 :: v_dual_add_f32 v175, v175, v22
	v_dual_add_f32 v186, v186, v13 :: v_dual_add_f32 v173, v173, v24
	.loc	1 86 25                         ; layer_norm_bwd.py:86:25
	s_add_co_i32 s0, s0, s14
	.loc	1 91 14                         ; layer_norm_bwd.py:91:14
	v_add_f32_e32 v182, v182, v17
	.loc	1 86 25                         ; layer_norm_bwd.py:86:25
	s_wait_alu depctr_sa_sdst(0)
	v_writelane_b32 v254, s0, 14
	.loc	1 91 14                         ; layer_norm_bwd.py:91:14
	v_add_f32_e32 v133, v133, v29
	v_dual_add_f32 v178, v178, v21 :: v_dual_add_f32 v169, v169, v28
	v_add_f32_e32 v174, v174, v25
	s_delay_alu instid0(VALU_DEP_4)
	.loc	1 86 25                         ; layer_norm_bwd.py:86:25
	v_readlane_b32 s0, v254, 15
	.loc	1 91 14                         ; layer_norm_bwd.py:91:14
	v_add_f32_e32 v167, v167, v30
	v_dual_add_f32 v170, v170, v26 :: v_dual_add_f32 v165, v165, v32
	v_add_f32_e32 v166, v166, v33
	.loc	1 86 25                         ; layer_norm_bwd.py:86:25
	s_add_co_i32 s0, s0, s14
	.loc	1 91 14                         ; layer_norm_bwd.py:91:14
	v_add_f32_e32 v163, v163, v34
	.loc	1 86 25                         ; layer_norm_bwd.py:86:25
	s_wait_alu depctr_sa_sdst(0)
	v_writelane_b32 v254, s0, 15
	.loc	1 91 14                         ; layer_norm_bwd.py:91:14
	v_dual_add_f32 v162, v162, v37 :: v_dual_add_f32 v161, v161, v36
	v_add_f32_e32 v158, v158, v41
	v_add_f32_e32 v154, v154, v45
	s_delay_alu instid0(VALU_DEP_4)
	.loc	1 86 25                         ; layer_norm_bwd.py:86:25
	v_readlane_b32 s0, v254, 16
	.loc	1 91 14                         ; layer_norm_bwd.py:91:14
	v_dual_add_f32 v159, v159, v38 :: v_dual_add_f32 v150, v150, v49
	v_add_f32_e32 v157, v157, v40
	v_add_f32_e32 v155, v155, v42
	.loc	1 86 25                         ; layer_norm_bwd.py:86:25
	s_add_co_i32 s0, s0, s14
	.loc	1 91 14                         ; layer_norm_bwd.py:91:14
	v_add_f32_e32 v153, v153, v44
	.loc	1 86 25                         ; layer_norm_bwd.py:86:25
	s_wait_alu depctr_sa_sdst(0)
	v_writelane_b32 v254, s0, 16
	.loc	1 91 14                         ; layer_norm_bwd.py:91:14
	v_add_f32_e32 v151, v151, v46
	s_delay_alu instid0(VALU_DEP_2) | instskip(SKIP_3) | instid1(VALU_DEP_1)
	.loc	1 86 25                         ; layer_norm_bwd.py:86:25
	v_readlane_b32 s0, v254, 17
	s_add_co_i32 s0, s0, s14
	s_wait_alu depctr_sa_sdst(0)
	v_writelane_b32 v254, s0, 17
	v_readlane_b32 s0, v254, 18
	s_add_co_i32 s0, s0, s14
	s_wait_alu depctr_sa_sdst(0)
	v_writelane_b32 v254, s0, 18
	s_delay_alu instid0(VALU_DEP_1) | instskip(SKIP_3) | instid1(VALU_DEP_1)
	v_readlane_b32 s0, v254, 19
	s_add_co_i32 s0, s0, s14
	s_wait_alu depctr_sa_sdst(0)
	v_writelane_b32 v254, s0, 19
	v_readlane_b32 s0, v254, 20
	s_add_co_i32 s0, s0, s14
	s_cmp_lt_i32 s78, s2
	s_wait_alu depctr_sa_sdst(0)
	v_writelane_b32 v254, s0, 20
	.loc	1 91 14                         ; layer_norm_bwd.py:91:14
	s_wait_loadcnt 0x1
	v_add_f32_e32 v2, v2, v51
	scratch_store_b32 off, v2, off offset:260 ; 4-byte Folded Spill
	scratch_load_b32 v2, off, off offset:256 ; 4-byte Folded Reload
	.loc	1 90 14                         ; layer_norm_bwd.py:90:14
	s_wait_loadcnt 0x0
	v_dual_add_f32 v203, v203, v139 :: v_dual_add_f32 v2, v2, v50
	.loc	1 91 14                         ; layer_norm_bwd.py:91:14
	scratch_store_b32 off, v2, off offset:256 ; 4-byte Folded Spill
	scratch_load_b32 v2, off, off offset:252 ; 4-byte Folded Reload
	.loc	1 90 14                         ; layer_norm_bwd.py:90:14
	s_wait_loadcnt 0x0
	v_dual_add_f32 v199, v199, v143 :: v_dual_add_f32 v2, v2, v53
	.loc	1 91 14                         ; layer_norm_bwd.py:91:14
	scratch_store_b32 off, v2, off offset:252 ; 4-byte Folded Spill
	scratch_load_b32 v2, off, off offset:248 ; 4-byte Folded Reload
	s_wait_loadcnt 0x0
	v_dual_add_f32 v195, v195, v3 :: v_dual_add_f32 v2, v2, v52
	scratch_store_b32 off, v2, off offset:248 ; 4-byte Folded Spill
	scratch_load_b32 v2, off, off offset:244 ; 4-byte Folded Reload
	s_wait_loadcnt 0x0
	v_add_f32_e32 v2, v2, v55
	scratch_store_b32 off, v2, off offset:244 ; 4-byte Folded Spill
	scratch_load_b32 v2, off, off offset:240 ; 4-byte Folded Reload
	s_wait_loadcnt 0x0
	v_dual_add_f32 v191, v191, v147 :: v_dual_add_f32 v2, v2, v54
	scratch_store_b32 off, v2, off offset:240 ; 4-byte Folded Spill
	scratch_load_b32 v2, off, off offset:236 ; 4-byte Folded Reload
	s_wait_loadcnt 0x0
	v_dual_add_f32 v171, v171, v27 :: v_dual_add_f32 v2, v2, v57
	scratch_store_b32 off, v2, off offset:236 ; 4-byte Folded Spill
	scratch_load_b32 v2, off, off offset:232 ; 4-byte Folded Reload
	s_wait_loadcnt 0x0
	v_add_f32_e32 v2, v2, v56
	scratch_store_b32 off, v2, off offset:232 ; 4-byte Folded Spill
	scratch_load_b32 v2, off, off offset:228 ; 4-byte Folded Reload
	s_wait_loadcnt 0x0
	v_add_f32_e32 v2, v2, v59
	;; [unrolled: 4-line block ×9, first 2 shown]
	scratch_store_b32 off, v2, off offset:200 ; 4-byte Folded Spill
	scratch_load_b32 v2, off, off offset:196 ; 4-byte Folded Reload
	.loc	1 90 14                         ; layer_norm_bwd.py:90:14
	v_add_f32_e32 v132, v132, v67
	scratch_load_b32 v67, off, off offset:8 th:TH_LOAD_LU ; 4-byte Folded Reload
	.loc	1 91 14                         ; layer_norm_bwd.py:91:14
	s_wait_loadcnt 0x1
	v_add_f32_e32 v2, v2, v66
	.loc	1 90 14                         ; layer_norm_bwd.py:90:14
	s_wait_loadcnt 0x0
	v_add_f32_e32 v0, v0, v67
	scratch_load_b32 v67, off, off offset:4 th:TH_LOAD_LU ; 4-byte Folded Reload
	.loc	1 86 25                         ; layer_norm_bwd.py:86:25
	scratch_store_b32 off, v2, off offset:196 ; 4-byte Folded Spill
	.loc	1 90 14                         ; layer_norm_bwd.py:90:14
	s_wait_loadcnt 0x0
	v_add_f32_e32 v5, v5, v67
	scratch_load_b32 v67, off, off offset:16 th:TH_LOAD_LU ; 4-byte Folded Reload
	s_wait_loadcnt 0x0
	v_add_f32_e32 v4, v4, v67
	scratch_load_b32 v67, off, off offset:12 th:TH_LOAD_LU ; 4-byte Folded Reload
	;; [unrolled: 3-line block ×46, first 2 shown]
	s_wait_loadcnt 0x0
	v_add_f32_e32 v209, v209, v67
	.loc	1 86 25                         ; layer_norm_bwd.py:86:25
	s_cbranch_scc0 .LBB0_259
.LBB0_3:                                ; %.lr.ph
                                        ; =>This Inner Loop Header: Depth=1
	.loc	1 0 25 is_stmt 0                ; layer_norm_bwd.py:0:25
	v_writelane_b32 v254, s7, 22
	.loc	1 89 35 is_stmt 1               ; layer_norm_bwd.py:89:35
	v_add_nc_u32_e32 v2, s7, v131
	v_mov_b32_e32 v6, 0
	s_delay_alu instid0(VALU_DEP_3) | instskip(NEXT) | instid1(VALU_DEP_3)
	.loc	1 87 19                         ; layer_norm_bwd.py:87:19
	v_readlane_b32 s0, v254, 21
	v_ashrrev_i32_e32 v3, 31, v2
	.loc	1 88 32                         ; layer_norm_bwd.py:88:32
	scratch_store_b32 off, v6, off          ; 4-byte Folded Spill
	.loc	1 87 19                         ; layer_norm_bwd.py:87:19
	s_add_co_i32 s81, s0, s78
	s_delay_alu instid0(SALU_CYCLE_1)
	.loc	1 88 32                         ; layer_norm_bwd.py:88:32
	s_cmp_lt_i32 s81, s2
	s_cselect_b32 s0, -1, 0
	.loc	1 88 38 is_stmt 0               ; layer_norm_bwd.py:88:38
	s_wait_alu depctr_sa_sdst(0)
	s_and_b32 s0, vcc_lo, s0
	s_wait_alu depctr_sa_sdst(0)
	v_writelane_b32 v254, s0, 23
	.loc	1 90 22 is_stmt 1               ; layer_norm_bwd.py:90:22
	s_and_saveexec_b32 s1, s0
	s_cbranch_execz .LBB0_5
; %bb.4:                                ;   in Loop: Header=BB0_3 Depth=1
	.loc	1 0 22 is_stmt 0                ; layer_norm_bwd.py:0:22
	v_lshlrev_b64_e32 v[6:7], 2, v[2:3]
	s_wait_kmcnt 0x0
	s_delay_alu instid0(VALU_DEP_1) | instskip(SKIP_1) | instid1(VALU_DEP_2)
	v_add_co_u32 v6, s0, s8, v6
	s_wait_alu depctr_va_sdst(0)
	v_add_co_ci_u32_e64 v7, null, s9, v7, s0
	.loc	1 90 22                         ; layer_norm_bwd.py:90:22
	global_load_b32 v6, v[6:7], off
	s_wait_loadcnt 0x0
	scratch_store_b32 off, v6, off          ; 4-byte Folded Spill
.LBB0_5:                                ;   in Loop: Header=BB0_3 Depth=1
	.loc	1 0 22                          ; layer_norm_bwd.py:0:22
	s_wait_alu depctr_sa_sdst(0)
	s_or_b32 exec_lo, exec_lo, s1
	.loc	1 89 35 is_stmt 1               ; layer_norm_bwd.py:89:35
	v_add_nc_u32_e32 v6, s77, v131
	.loc	1 87 19                         ; layer_norm_bwd.py:87:19
	s_add_co_i32 s0, s81, 2
	v_mov_b32_e32 v8, 0
	.loc	1 88 32                         ; layer_norm_bwd.py:88:32
	s_wait_alu depctr_sa_sdst(0)
	s_cmp_lt_i32 s0, s2
	s_cselect_b32 s0, -1, 0
	.loc	1 90 27                         ; layer_norm_bwd.py:90:27
	v_ashrrev_i32_e32 v7, 31, v6
	.loc	1 88 38                         ; layer_norm_bwd.py:88:38
	s_wait_alu depctr_sa_sdst(0)
	s_and_b32 s0, vcc_lo, s0
	s_wait_alu depctr_sa_sdst(0)
	v_writelane_b32 v254, s0, 24
	v_lshlrev_b64_e32 v[147:148], 2, v[6:7]
	v_mov_b32_e32 v6, 0
	.loc	1 88 32 is_stmt 0               ; layer_norm_bwd.py:88:32
	s_clause 0x1                            ; 8-byte Folded Spill
	scratch_store_b32 off, v8, off offset:4
	scratch_store_b32 off, v6, off offset:8
	.loc	1 90 22 is_stmt 1               ; layer_norm_bwd.py:90:22
	s_and_saveexec_b32 s1, s0
	s_cbranch_execz .LBB0_7
; %bb.6:                                ;   in Loop: Header=BB0_3 Depth=1
	.loc	1 90 27 is_stmt 0               ; layer_norm_bwd.py:90:27
	s_wait_kmcnt 0x0
	v_add_co_u32 v6, s0, s8, v147
	s_wait_alu depctr_va_sdst(0)
	v_add_co_ci_u32_e64 v7, null, s9, v148, s0
	.loc	1 90 22                         ; layer_norm_bwd.py:90:22
	global_load_b32 v6, v[6:7], off
	s_wait_loadcnt 0x0
	scratch_store_b32 off, v6, off offset:8 ; 4-byte Folded Spill
.LBB0_7:                                ;   in Loop: Header=BB0_3 Depth=1
	.loc	1 0 22                          ; layer_norm_bwd.py:0:22
	s_wait_alu depctr_sa_sdst(0)
	s_or_b32 exec_lo, exec_lo, s1
	.loc	1 89 35 is_stmt 1               ; layer_norm_bwd.py:89:35
	v_add_nc_u32_e32 v6, s3, v131
	.loc	1 87 19                         ; layer_norm_bwd.py:87:19
	s_add_co_i32 s0, s81, 4
	.loc	1 88 32                         ; layer_norm_bwd.py:88:32
	s_wait_alu depctr_sa_sdst(0)
	s_cmp_lt_i32 s0, s2
	s_cselect_b32 s0, -1, 0
	.loc	1 90 27                         ; layer_norm_bwd.py:90:27
	v_ashrrev_i32_e32 v7, 31, v6
	.loc	1 88 38                         ; layer_norm_bwd.py:88:38
	s_wait_alu depctr_sa_sdst(0)
	s_and_b32 s0, vcc_lo, s0
	s_wait_alu depctr_sa_sdst(0)
	v_writelane_b32 v254, s0, 25
	v_lshlrev_b64_e32 v[6:7], 2, v[6:7]
	.loc	1 88 32 is_stmt 0               ; layer_norm_bwd.py:88:32
	scratch_store_b64 off, v[6:7], off offset:264 ; 8-byte Folded Spill
	.loc	1 90 22 is_stmt 1               ; layer_norm_bwd.py:90:22
	s_and_saveexec_b32 s1, s0
	s_cbranch_execz .LBB0_9
; %bb.8:                                ;   in Loop: Header=BB0_3 Depth=1
	.loc	1 0 22 is_stmt 0                ; layer_norm_bwd.py:0:22
	scratch_load_b64 v[6:7], off, off offset:264 ; 8-byte Folded Reload
	.loc	1 90 27                         ; layer_norm_bwd.py:90:27
	s_wait_loadcnt 0x0
	s_wait_kmcnt 0x0
	v_add_co_u32 v6, s0, s8, v6
	s_wait_alu depctr_va_sdst(0)
	v_add_co_ci_u32_e64 v7, null, s9, v7, s0
	.loc	1 90 22                         ; layer_norm_bwd.py:90:22
	global_load_b32 v6, v[6:7], off
	s_wait_loadcnt 0x0
	scratch_store_b32 off, v6, off offset:4 ; 4-byte Folded Spill
.LBB0_9:                                ;   in Loop: Header=BB0_3 Depth=1
	.loc	1 0 22                          ; layer_norm_bwd.py:0:22
	s_wait_alu depctr_sa_sdst(0)
	s_or_b32 exec_lo, exec_lo, s1
	.loc	1 89 35 is_stmt 1               ; layer_norm_bwd.py:89:35
	v_add_nc_u32_e32 v6, s76, v131
	.loc	1 87 19                         ; layer_norm_bwd.py:87:19
	s_add_co_i32 s0, s81, 6
	v_mov_b32_e32 v8, 0
	.loc	1 88 32                         ; layer_norm_bwd.py:88:32
	s_wait_alu depctr_sa_sdst(0)
	s_cmp_lt_i32 s0, s2
	s_cselect_b32 s0, -1, 0
	.loc	1 90 27                         ; layer_norm_bwd.py:90:27
	v_ashrrev_i32_e32 v7, 31, v6
	.loc	1 88 38                         ; layer_norm_bwd.py:88:38
	s_wait_alu depctr_sa_sdst(0)
	s_and_b32 s0, vcc_lo, s0
	s_wait_alu depctr_sa_sdst(0)
	v_writelane_b32 v254, s0, 26
	v_lshlrev_b64_e32 v[6:7], 2, v[6:7]
	scratch_store_b64 off, v[6:7], off offset:272 ; 8-byte Folded Spill
	v_mov_b32_e32 v6, 0
	.loc	1 88 32 is_stmt 0               ; layer_norm_bwd.py:88:32
	s_clause 0x1                            ; 8-byte Folded Spill
	scratch_store_b32 off, v8, off offset:12
	scratch_store_b32 off, v6, off offset:16
	.loc	1 90 22 is_stmt 1               ; layer_norm_bwd.py:90:22
	s_and_saveexec_b32 s1, s0
	s_cbranch_execz .LBB0_11
; %bb.10:                               ;   in Loop: Header=BB0_3 Depth=1
	.loc	1 0 22 is_stmt 0                ; layer_norm_bwd.py:0:22
	scratch_load_b64 v[6:7], off, off offset:272 ; 8-byte Folded Reload
	.loc	1 90 27                         ; layer_norm_bwd.py:90:27
	s_wait_loadcnt 0x0
	s_wait_kmcnt 0x0
	v_add_co_u32 v6, s0, s8, v6
	s_wait_alu depctr_va_sdst(0)
	v_add_co_ci_u32_e64 v7, null, s9, v7, s0
	.loc	1 90 22                         ; layer_norm_bwd.py:90:22
	global_load_b32 v6, v[6:7], off
	s_wait_loadcnt 0x0
	scratch_store_b32 off, v6, off offset:16 ; 4-byte Folded Spill
.LBB0_11:                               ;   in Loop: Header=BB0_3 Depth=1
	.loc	1 0 22                          ; layer_norm_bwd.py:0:22
	s_wait_alu depctr_sa_sdst(0)
	s_or_b32 exec_lo, exec_lo, s1
	.loc	1 89 35 is_stmt 1               ; layer_norm_bwd.py:89:35
	v_add_nc_u32_e32 v6, s75, v131
	.loc	1 87 19                         ; layer_norm_bwd.py:87:19
	s_add_co_i32 s0, s81, 8
	.loc	1 88 32                         ; layer_norm_bwd.py:88:32
	s_wait_alu depctr_sa_sdst(0)
	s_cmp_lt_i32 s0, s2
	s_cselect_b32 s0, -1, 0
	.loc	1 90 27                         ; layer_norm_bwd.py:90:27
	v_ashrrev_i32_e32 v7, 31, v6
	.loc	1 88 38                         ; layer_norm_bwd.py:88:38
	s_wait_alu depctr_sa_sdst(0)
	s_and_b32 s0, vcc_lo, s0
	s_wait_alu depctr_sa_sdst(0)
	v_writelane_b32 v254, s0, 27
	v_lshlrev_b64_e32 v[10:11], 2, v[6:7]
	.loc	1 90 22                         ; layer_norm_bwd.py:90:22
	s_and_saveexec_b32 s1, s0
	s_cbranch_execz .LBB0_13
; %bb.12:                               ;   in Loop: Header=BB0_3 Depth=1
	.loc	1 90 27 is_stmt 0               ; layer_norm_bwd.py:90:27
	s_wait_kmcnt 0x0
	s_delay_alu instid0(VALU_DEP_1)
	v_add_co_u32 v6, s0, s8, v10
	s_wait_alu depctr_va_sdst(0)
	v_add_co_ci_u32_e64 v7, null, s9, v11, s0
	.loc	1 90 22                         ; layer_norm_bwd.py:90:22
	global_load_b32 v6, v[6:7], off
	s_wait_loadcnt 0x0
	scratch_store_b32 off, v6, off offset:12 ; 4-byte Folded Spill
.LBB0_13:                               ;   in Loop: Header=BB0_3 Depth=1
	.loc	1 0 22                          ; layer_norm_bwd.py:0:22
	s_wait_alu depctr_sa_sdst(0)
	s_or_b32 exec_lo, exec_lo, s1
	.loc	1 89 35 is_stmt 1               ; layer_norm_bwd.py:89:35
	v_add_nc_u32_e32 v6, s74, v131
	.loc	1 87 19                         ; layer_norm_bwd.py:87:19
	s_add_co_i32 s0, s81, 10
	v_mov_b32_e32 v12, 0
	.loc	1 88 32                         ; layer_norm_bwd.py:88:32
	s_wait_alu depctr_sa_sdst(0)
	s_cmp_lt_i32 s0, s2
	s_cselect_b32 s0, -1, 0
	.loc	1 90 27                         ; layer_norm_bwd.py:90:27
	v_ashrrev_i32_e32 v7, 31, v6
	.loc	1 88 38                         ; layer_norm_bwd.py:88:38
	s_wait_alu depctr_sa_sdst(0)
	s_and_b32 s0, vcc_lo, s0
	scratch_store_b32 off, v12, off offset:20 ; 4-byte Folded Spill
	s_wait_alu depctr_sa_sdst(0)
	v_writelane_b32 v254, s0, 28
	v_lshlrev_b64_e32 v[12:13], 2, v[6:7]
	v_mov_b32_e32 v6, 0
	.loc	1 88 32 is_stmt 0               ; layer_norm_bwd.py:88:32
	scratch_store_b32 off, v6, off offset:24 ; 4-byte Folded Spill
	.loc	1 90 22 is_stmt 1               ; layer_norm_bwd.py:90:22
	s_and_saveexec_b32 s1, s0
	s_cbranch_execz .LBB0_15
; %bb.14:                               ;   in Loop: Header=BB0_3 Depth=1
	.loc	1 90 27 is_stmt 0               ; layer_norm_bwd.py:90:27
	s_wait_kmcnt 0x0
	v_add_co_u32 v6, s0, s8, v12
	s_wait_alu depctr_va_sdst(0)
	v_add_co_ci_u32_e64 v7, null, s9, v13, s0
	.loc	1 90 22                         ; layer_norm_bwd.py:90:22
	global_load_b32 v6, v[6:7], off
	s_wait_loadcnt 0x0
	scratch_store_b32 off, v6, off offset:24 ; 4-byte Folded Spill
.LBB0_15:                               ;   in Loop: Header=BB0_3 Depth=1
	.loc	1 0 22                          ; layer_norm_bwd.py:0:22
	s_wait_alu depctr_sa_sdst(0)
	s_or_b32 exec_lo, exec_lo, s1
	.loc	1 89 35 is_stmt 1               ; layer_norm_bwd.py:89:35
	v_add_nc_u32_e32 v6, s73, v131
	.loc	1 87 19                         ; layer_norm_bwd.py:87:19
	s_add_co_i32 s0, s81, 12
	.loc	1 88 32                         ; layer_norm_bwd.py:88:32
	s_wait_alu depctr_sa_sdst(0)
	s_cmp_lt_i32 s0, s2
	s_cselect_b32 s0, -1, 0
	.loc	1 90 27                         ; layer_norm_bwd.py:90:27
	v_ashrrev_i32_e32 v7, 31, v6
	.loc	1 88 38                         ; layer_norm_bwd.py:88:38
	s_wait_alu depctr_sa_sdst(0)
	s_and_b32 s0, vcc_lo, s0
	s_wait_alu depctr_sa_sdst(0)
	v_writelane_b32 v254, s0, 29
	v_lshlrev_b64_e32 v[14:15], 2, v[6:7]
	.loc	1 90 22                         ; layer_norm_bwd.py:90:22
	s_and_saveexec_b32 s1, s0
	s_cbranch_execz .LBB0_17
; %bb.16:                               ;   in Loop: Header=BB0_3 Depth=1
	.loc	1 90 27 is_stmt 0               ; layer_norm_bwd.py:90:27
	s_wait_kmcnt 0x0
	s_delay_alu instid0(VALU_DEP_1)
	v_add_co_u32 v6, s0, s8, v14
	s_wait_alu depctr_va_sdst(0)
	v_add_co_ci_u32_e64 v7, null, s9, v15, s0
	.loc	1 90 22                         ; layer_norm_bwd.py:90:22
	global_load_b32 v6, v[6:7], off
	s_wait_loadcnt 0x0
	scratch_store_b32 off, v6, off offset:20 ; 4-byte Folded Spill
.LBB0_17:                               ;   in Loop: Header=BB0_3 Depth=1
	.loc	1 0 22                          ; layer_norm_bwd.py:0:22
	s_wait_alu depctr_sa_sdst(0)
	s_or_b32 exec_lo, exec_lo, s1
	.loc	1 89 35 is_stmt 1               ; layer_norm_bwd.py:89:35
	v_add_nc_u32_e32 v6, s72, v131
	.loc	1 87 19                         ; layer_norm_bwd.py:87:19
	s_add_co_i32 s0, s81, 14
	v_mov_b32_e32 v16, 0
	.loc	1 88 32                         ; layer_norm_bwd.py:88:32
	s_wait_alu depctr_sa_sdst(0)
	s_cmp_lt_i32 s0, s2
	s_cselect_b32 s0, -1, 0
	.loc	1 90 27                         ; layer_norm_bwd.py:90:27
	v_ashrrev_i32_e32 v7, 31, v6
	.loc	1 88 38                         ; layer_norm_bwd.py:88:38
	s_wait_alu depctr_sa_sdst(0)
	s_and_b32 s0, vcc_lo, s0
	scratch_store_b32 off, v16, off offset:28 ; 4-byte Folded Spill
	s_wait_alu depctr_sa_sdst(0)
	v_writelane_b32 v254, s0, 30
	v_lshlrev_b64_e32 v[16:17], 2, v[6:7]
	v_mov_b32_e32 v6, 0
	.loc	1 88 32 is_stmt 0               ; layer_norm_bwd.py:88:32
	scratch_store_b32 off, v6, off offset:32 ; 4-byte Folded Spill
	.loc	1 90 22 is_stmt 1               ; layer_norm_bwd.py:90:22
	s_and_saveexec_b32 s1, s0
	s_cbranch_execz .LBB0_19
; %bb.18:                               ;   in Loop: Header=BB0_3 Depth=1
	.loc	1 90 27 is_stmt 0               ; layer_norm_bwd.py:90:27
	s_wait_kmcnt 0x0
	v_add_co_u32 v6, s0, s8, v16
	s_wait_alu depctr_va_sdst(0)
	v_add_co_ci_u32_e64 v7, null, s9, v17, s0
	.loc	1 90 22                         ; layer_norm_bwd.py:90:22
	global_load_b32 v6, v[6:7], off
	s_wait_loadcnt 0x0
	scratch_store_b32 off, v6, off offset:32 ; 4-byte Folded Spill
.LBB0_19:                               ;   in Loop: Header=BB0_3 Depth=1
	.loc	1 0 22                          ; layer_norm_bwd.py:0:22
	s_wait_alu depctr_sa_sdst(0)
	s_or_b32 exec_lo, exec_lo, s1
	.loc	1 89 35 is_stmt 1               ; layer_norm_bwd.py:89:35
	v_add_nc_u32_e32 v6, s71, v131
	.loc	1 87 19                         ; layer_norm_bwd.py:87:19
	s_add_co_i32 s0, s81, 16
	.loc	1 88 32                         ; layer_norm_bwd.py:88:32
	s_wait_alu depctr_sa_sdst(0)
	s_cmp_lt_i32 s0, s2
	s_cselect_b32 s0, -1, 0
	.loc	1 90 27                         ; layer_norm_bwd.py:90:27
	v_ashrrev_i32_e32 v7, 31, v6
	.loc	1 88 38                         ; layer_norm_bwd.py:88:38
	s_wait_alu depctr_sa_sdst(0)
	s_and_b32 s0, vcc_lo, s0
	s_wait_alu depctr_sa_sdst(0)
	v_writelane_b32 v254, s0, 31
	v_lshlrev_b64_e32 v[18:19], 2, v[6:7]
	.loc	1 90 22                         ; layer_norm_bwd.py:90:22
	s_and_saveexec_b32 s1, s0
	s_cbranch_execz .LBB0_21
; %bb.20:                               ;   in Loop: Header=BB0_3 Depth=1
	.loc	1 90 27 is_stmt 0               ; layer_norm_bwd.py:90:27
	s_wait_kmcnt 0x0
	s_delay_alu instid0(VALU_DEP_1)
	v_add_co_u32 v6, s0, s8, v18
	s_wait_alu depctr_va_sdst(0)
	v_add_co_ci_u32_e64 v7, null, s9, v19, s0
	.loc	1 90 22                         ; layer_norm_bwd.py:90:22
	global_load_b32 v6, v[6:7], off
	s_wait_loadcnt 0x0
	scratch_store_b32 off, v6, off offset:28 ; 4-byte Folded Spill
.LBB0_21:                               ;   in Loop: Header=BB0_3 Depth=1
	.loc	1 0 22                          ; layer_norm_bwd.py:0:22
	s_wait_alu depctr_sa_sdst(0)
	s_or_b32 exec_lo, exec_lo, s1
	.loc	1 89 35 is_stmt 1               ; layer_norm_bwd.py:89:35
	v_add_nc_u32_e32 v6, s70, v131
	.loc	1 87 19                         ; layer_norm_bwd.py:87:19
	s_add_co_i32 s0, s81, 18
	v_mov_b32_e32 v20, 0
	.loc	1 88 32                         ; layer_norm_bwd.py:88:32
	s_wait_alu depctr_sa_sdst(0)
	s_cmp_lt_i32 s0, s2
                                        ; implicit-def: $vgpr255 : SGPR spill to VGPR lane
	s_cselect_b32 s0, -1, 0
	.loc	1 90 27                         ; layer_norm_bwd.py:90:27
	v_ashrrev_i32_e32 v7, 31, v6
	.loc	1 88 38                         ; layer_norm_bwd.py:88:38
	s_wait_alu depctr_sa_sdst(0)
	s_and_b32 s0, vcc_lo, s0
	scratch_store_b32 off, v20, off offset:36 ; 4-byte Folded Spill
	s_wait_alu depctr_sa_sdst(0)
	v_writelane_b32 v255, s0, 0
	v_lshlrev_b64_e32 v[20:21], 2, v[6:7]
	v_mov_b32_e32 v6, 0
	.loc	1 88 32 is_stmt 0               ; layer_norm_bwd.py:88:32
	scratch_store_b32 off, v6, off offset:40 ; 4-byte Folded Spill
	.loc	1 90 22 is_stmt 1               ; layer_norm_bwd.py:90:22
	s_and_saveexec_b32 s1, s0
	s_cbranch_execz .LBB0_23
; %bb.22:                               ;   in Loop: Header=BB0_3 Depth=1
	.loc	1 90 27 is_stmt 0               ; layer_norm_bwd.py:90:27
	s_wait_kmcnt 0x0
	v_add_co_u32 v6, s0, s8, v20
	s_wait_alu depctr_va_sdst(0)
	v_add_co_ci_u32_e64 v7, null, s9, v21, s0
	.loc	1 90 22                         ; layer_norm_bwd.py:90:22
	global_load_b32 v6, v[6:7], off
	s_wait_loadcnt 0x0
	scratch_store_b32 off, v6, off offset:40 ; 4-byte Folded Spill
.LBB0_23:                               ;   in Loop: Header=BB0_3 Depth=1
	.loc	1 0 22                          ; layer_norm_bwd.py:0:22
	s_wait_alu depctr_sa_sdst(0)
	s_or_b32 exec_lo, exec_lo, s1
	.loc	1 89 35 is_stmt 1               ; layer_norm_bwd.py:89:35
	v_add_nc_u32_e32 v6, s69, v131
	.loc	1 87 19                         ; layer_norm_bwd.py:87:19
	s_add_co_i32 s0, s81, 20
	.loc	1 88 32                         ; layer_norm_bwd.py:88:32
	s_wait_alu depctr_sa_sdst(0)
	s_cmp_lt_i32 s0, s2
	s_cselect_b32 s0, -1, 0
	.loc	1 90 27                         ; layer_norm_bwd.py:90:27
	v_ashrrev_i32_e32 v7, 31, v6
	.loc	1 88 38                         ; layer_norm_bwd.py:88:38
	s_wait_alu depctr_sa_sdst(0)
	s_and_b32 s0, vcc_lo, s0
	s_wait_alu depctr_sa_sdst(0)
	v_writelane_b32 v255, s0, 1
	v_lshlrev_b64_e32 v[22:23], 2, v[6:7]
	.loc	1 90 22                         ; layer_norm_bwd.py:90:22
	s_and_saveexec_b32 s1, s0
	s_cbranch_execz .LBB0_25
; %bb.24:                               ;   in Loop: Header=BB0_3 Depth=1
	.loc	1 90 27 is_stmt 0               ; layer_norm_bwd.py:90:27
	s_wait_kmcnt 0x0
	s_delay_alu instid0(VALU_DEP_1)
	v_add_co_u32 v6, s0, s8, v22
	s_wait_alu depctr_va_sdst(0)
	v_add_co_ci_u32_e64 v7, null, s9, v23, s0
	.loc	1 90 22                         ; layer_norm_bwd.py:90:22
	global_load_b32 v6, v[6:7], off
	s_wait_loadcnt 0x0
	scratch_store_b32 off, v6, off offset:36 ; 4-byte Folded Spill
.LBB0_25:                               ;   in Loop: Header=BB0_3 Depth=1
	.loc	1 0 22                          ; layer_norm_bwd.py:0:22
	s_wait_alu depctr_sa_sdst(0)
	s_or_b32 exec_lo, exec_lo, s1
	.loc	1 89 35 is_stmt 1               ; layer_norm_bwd.py:89:35
	v_add_nc_u32_e32 v6, s68, v131
	.loc	1 87 19                         ; layer_norm_bwd.py:87:19
	s_add_co_i32 s0, s81, 22
	v_mov_b32_e32 v24, 0
	.loc	1 88 32                         ; layer_norm_bwd.py:88:32
	s_wait_alu depctr_sa_sdst(0)
	s_cmp_lt_i32 s0, s2
	s_cselect_b32 s0, -1, 0
	.loc	1 90 27                         ; layer_norm_bwd.py:90:27
	v_ashrrev_i32_e32 v7, 31, v6
	.loc	1 88 38                         ; layer_norm_bwd.py:88:38
	s_wait_alu depctr_sa_sdst(0)
	s_and_b32 s0, vcc_lo, s0
	scratch_store_b32 off, v24, off offset:44 ; 4-byte Folded Spill
	s_wait_alu depctr_sa_sdst(0)
	v_writelane_b32 v255, s0, 2
	v_lshlrev_b64_e32 v[24:25], 2, v[6:7]
	v_mov_b32_e32 v6, 0
	.loc	1 88 32 is_stmt 0               ; layer_norm_bwd.py:88:32
	scratch_store_b32 off, v6, off offset:48 ; 4-byte Folded Spill
	.loc	1 90 22 is_stmt 1               ; layer_norm_bwd.py:90:22
	s_and_saveexec_b32 s1, s0
	s_cbranch_execz .LBB0_27
; %bb.26:                               ;   in Loop: Header=BB0_3 Depth=1
	.loc	1 90 27 is_stmt 0               ; layer_norm_bwd.py:90:27
	s_wait_kmcnt 0x0
	v_add_co_u32 v6, s0, s8, v24
	s_wait_alu depctr_va_sdst(0)
	v_add_co_ci_u32_e64 v7, null, s9, v25, s0
	.loc	1 90 22                         ; layer_norm_bwd.py:90:22
	global_load_b32 v6, v[6:7], off
	s_wait_loadcnt 0x0
	scratch_store_b32 off, v6, off offset:48 ; 4-byte Folded Spill
.LBB0_27:                               ;   in Loop: Header=BB0_3 Depth=1
	.loc	1 0 22                          ; layer_norm_bwd.py:0:22
	s_wait_alu depctr_sa_sdst(0)
	s_or_b32 exec_lo, exec_lo, s1
	.loc	1 89 35 is_stmt 1               ; layer_norm_bwd.py:89:35
	v_add_nc_u32_e32 v6, s67, v131
	.loc	1 87 19                         ; layer_norm_bwd.py:87:19
	s_add_co_i32 s0, s81, 24
	.loc	1 88 32                         ; layer_norm_bwd.py:88:32
	s_wait_alu depctr_sa_sdst(0)
	s_cmp_lt_i32 s0, s2
	s_cselect_b32 s0, -1, 0
	.loc	1 90 27                         ; layer_norm_bwd.py:90:27
	v_ashrrev_i32_e32 v7, 31, v6
	.loc	1 88 38                         ; layer_norm_bwd.py:88:38
	s_wait_alu depctr_sa_sdst(0)
	s_and_b32 s0, vcc_lo, s0
	s_wait_alu depctr_sa_sdst(0)
	v_writelane_b32 v255, s0, 3
	v_lshlrev_b64_e32 v[26:27], 2, v[6:7]
	.loc	1 90 22                         ; layer_norm_bwd.py:90:22
	s_and_saveexec_b32 s1, s0
	s_cbranch_execz .LBB0_29
; %bb.28:                               ;   in Loop: Header=BB0_3 Depth=1
	.loc	1 90 27 is_stmt 0               ; layer_norm_bwd.py:90:27
	s_wait_kmcnt 0x0
	s_delay_alu instid0(VALU_DEP_1)
	v_add_co_u32 v6, s0, s8, v26
	s_wait_alu depctr_va_sdst(0)
	v_add_co_ci_u32_e64 v7, null, s9, v27, s0
	.loc	1 90 22                         ; layer_norm_bwd.py:90:22
	global_load_b32 v6, v[6:7], off
	s_wait_loadcnt 0x0
	scratch_store_b32 off, v6, off offset:44 ; 4-byte Folded Spill
.LBB0_29:                               ;   in Loop: Header=BB0_3 Depth=1
	.loc	1 0 22                          ; layer_norm_bwd.py:0:22
	s_wait_alu depctr_sa_sdst(0)
	s_or_b32 exec_lo, exec_lo, s1
	.loc	1 89 35 is_stmt 1               ; layer_norm_bwd.py:89:35
	v_add_nc_u32_e32 v6, s66, v131
	.loc	1 87 19                         ; layer_norm_bwd.py:87:19
	s_add_co_i32 s0, s81, 26
	v_mov_b32_e32 v28, 0
	.loc	1 88 32                         ; layer_norm_bwd.py:88:32
	s_wait_alu depctr_sa_sdst(0)
	s_cmp_lt_i32 s0, s2
	s_cselect_b32 s0, -1, 0
	.loc	1 90 27                         ; layer_norm_bwd.py:90:27
	v_ashrrev_i32_e32 v7, 31, v6
	.loc	1 88 38                         ; layer_norm_bwd.py:88:38
	s_wait_alu depctr_sa_sdst(0)
	s_and_b32 s0, vcc_lo, s0
	scratch_store_b32 off, v28, off offset:52 ; 4-byte Folded Spill
	s_wait_alu depctr_sa_sdst(0)
	v_writelane_b32 v255, s0, 4
	v_lshlrev_b64_e32 v[28:29], 2, v[6:7]
	v_mov_b32_e32 v6, 0
	.loc	1 88 32 is_stmt 0               ; layer_norm_bwd.py:88:32
	scratch_store_b32 off, v6, off offset:56 ; 4-byte Folded Spill
	.loc	1 90 22 is_stmt 1               ; layer_norm_bwd.py:90:22
	s_and_saveexec_b32 s1, s0
	s_cbranch_execz .LBB0_31
; %bb.30:                               ;   in Loop: Header=BB0_3 Depth=1
	.loc	1 90 27 is_stmt 0               ; layer_norm_bwd.py:90:27
	s_wait_kmcnt 0x0
	v_add_co_u32 v6, s0, s8, v28
	s_wait_alu depctr_va_sdst(0)
	v_add_co_ci_u32_e64 v7, null, s9, v29, s0
	.loc	1 90 22                         ; layer_norm_bwd.py:90:22
	global_load_b32 v6, v[6:7], off
	s_wait_loadcnt 0x0
	scratch_store_b32 off, v6, off offset:56 ; 4-byte Folded Spill
.LBB0_31:                               ;   in Loop: Header=BB0_3 Depth=1
	.loc	1 0 22                          ; layer_norm_bwd.py:0:22
	s_wait_alu depctr_sa_sdst(0)
	s_or_b32 exec_lo, exec_lo, s1
	.loc	1 89 35 is_stmt 1               ; layer_norm_bwd.py:89:35
	v_add_nc_u32_e32 v6, s65, v131
	.loc	1 87 19                         ; layer_norm_bwd.py:87:19
	s_add_co_i32 s0, s81, 28
	.loc	1 88 32                         ; layer_norm_bwd.py:88:32
	s_wait_alu depctr_sa_sdst(0)
	s_cmp_lt_i32 s0, s2
	s_cselect_b32 s0, -1, 0
	.loc	1 90 27                         ; layer_norm_bwd.py:90:27
	v_ashrrev_i32_e32 v7, 31, v6
	.loc	1 88 38                         ; layer_norm_bwd.py:88:38
	s_wait_alu depctr_sa_sdst(0)
	s_and_b32 s0, vcc_lo, s0
	s_wait_alu depctr_sa_sdst(0)
	v_writelane_b32 v255, s0, 5
	v_lshlrev_b64_e32 v[30:31], 2, v[6:7]
	.loc	1 90 22                         ; layer_norm_bwd.py:90:22
	s_and_saveexec_b32 s1, s0
	s_cbranch_execz .LBB0_33
; %bb.32:                               ;   in Loop: Header=BB0_3 Depth=1
	.loc	1 90 27 is_stmt 0               ; layer_norm_bwd.py:90:27
	s_wait_kmcnt 0x0
	s_delay_alu instid0(VALU_DEP_1)
	v_add_co_u32 v6, s0, s8, v30
	s_wait_alu depctr_va_sdst(0)
	v_add_co_ci_u32_e64 v7, null, s9, v31, s0
	.loc	1 90 22                         ; layer_norm_bwd.py:90:22
	global_load_b32 v6, v[6:7], off
	s_wait_loadcnt 0x0
	scratch_store_b32 off, v6, off offset:52 ; 4-byte Folded Spill
.LBB0_33:                               ;   in Loop: Header=BB0_3 Depth=1
	.loc	1 0 22                          ; layer_norm_bwd.py:0:22
	s_wait_alu depctr_sa_sdst(0)
	s_or_b32 exec_lo, exec_lo, s1
	.loc	1 89 35 is_stmt 1               ; layer_norm_bwd.py:89:35
	v_add_nc_u32_e32 v6, s64, v131
	v_mov_b32_e32 v32, 0
	.loc	1 87 19                         ; layer_norm_bwd.py:87:19
	s_add_co_i32 s0, s81, 30
	.loc	1 88 32                         ; layer_norm_bwd.py:88:32
	s_wait_alu depctr_sa_sdst(0)
	s_cmp_lt_i32 s0, s2
	.loc	1 90 27                         ; layer_norm_bwd.py:90:27
	v_ashrrev_i32_e32 v7, 31, v6
	scratch_store_b32 off, v32, off offset:60 ; 4-byte Folded Spill
	.loc	1 88 32                         ; layer_norm_bwd.py:88:32
	s_cselect_b32 s0, -1, 0
	.loc	1 88 38 is_stmt 0               ; layer_norm_bwd.py:88:38
	s_wait_alu depctr_sa_sdst(0)
	s_and_b32 s95, vcc_lo, s0
	v_lshlrev_b64_e32 v[32:33], 2, v[6:7]
	v_mov_b32_e32 v6, 0
	.loc	1 88 32                         ; layer_norm_bwd.py:88:32
	scratch_store_b32 off, v6, off offset:64 ; 4-byte Folded Spill
	.loc	1 90 22 is_stmt 1               ; layer_norm_bwd.py:90:22
	s_and_saveexec_b32 s1, s95
	s_cbranch_execz .LBB0_35
; %bb.34:                               ;   in Loop: Header=BB0_3 Depth=1
	.loc	1 90 27 is_stmt 0               ; layer_norm_bwd.py:90:27
	s_wait_kmcnt 0x0
	v_add_co_u32 v6, s0, s8, v32
	s_wait_alu depctr_va_sdst(0)
	v_add_co_ci_u32_e64 v7, null, s9, v33, s0
	.loc	1 90 22                         ; layer_norm_bwd.py:90:22
	global_load_b32 v6, v[6:7], off
	s_wait_loadcnt 0x0
	scratch_store_b32 off, v6, off offset:64 ; 4-byte Folded Spill
.LBB0_35:                               ;   in Loop: Header=BB0_3 Depth=1
	.loc	1 0 22                          ; layer_norm_bwd.py:0:22
	s_wait_alu depctr_sa_sdst(0)
	s_or_b32 exec_lo, exec_lo, s1
	.loc	1 89 35 is_stmt 1               ; layer_norm_bwd.py:89:35
	v_add_nc_u32_e32 v6, s63, v131
	.loc	1 87 19                         ; layer_norm_bwd.py:87:19
	s_add_co_i32 s0, s81, 32
	.loc	1 88 32                         ; layer_norm_bwd.py:88:32
	s_wait_alu depctr_sa_sdst(0)
	s_cmp_lt_i32 s0, s2
	s_cselect_b32 s0, -1, 0
	.loc	1 90 27                         ; layer_norm_bwd.py:90:27
	v_ashrrev_i32_e32 v7, 31, v6
	.loc	1 88 38                         ; layer_norm_bwd.py:88:38
	s_wait_alu depctr_sa_sdst(0)
	s_and_b32 s96, vcc_lo, s0
	s_delay_alu instid0(VALU_DEP_1)
	v_lshlrev_b64_e32 v[34:35], 2, v[6:7]
	.loc	1 90 22                         ; layer_norm_bwd.py:90:22
	s_and_saveexec_b32 s1, s96
	s_cbranch_execz .LBB0_37
; %bb.36:                               ;   in Loop: Header=BB0_3 Depth=1
	.loc	1 90 27 is_stmt 0               ; layer_norm_bwd.py:90:27
	s_wait_kmcnt 0x0
	s_delay_alu instid0(VALU_DEP_1)
	v_add_co_u32 v6, s0, s8, v34
	s_wait_alu depctr_va_sdst(0)
	v_add_co_ci_u32_e64 v7, null, s9, v35, s0
	.loc	1 90 22                         ; layer_norm_bwd.py:90:22
	global_load_b32 v6, v[6:7], off
	s_wait_loadcnt 0x0
	scratch_store_b32 off, v6, off offset:60 ; 4-byte Folded Spill
.LBB0_37:                               ;   in Loop: Header=BB0_3 Depth=1
	.loc	1 0 22                          ; layer_norm_bwd.py:0:22
	s_wait_alu depctr_sa_sdst(0)
	s_or_b32 exec_lo, exec_lo, s1
	.loc	1 89 35 is_stmt 1               ; layer_norm_bwd.py:89:35
	v_add_nc_u32_e32 v6, s62, v131
	v_mov_b32_e32 v36, 0
	.loc	1 87 19                         ; layer_norm_bwd.py:87:19
	s_add_co_i32 s0, s81, 34
	.loc	1 88 32                         ; layer_norm_bwd.py:88:32
	s_wait_alu depctr_sa_sdst(0)
	s_cmp_lt_i32 s0, s2
	.loc	1 90 27                         ; layer_norm_bwd.py:90:27
	v_ashrrev_i32_e32 v7, 31, v6
	scratch_store_b32 off, v36, off offset:68 ; 4-byte Folded Spill
	.loc	1 88 32                         ; layer_norm_bwd.py:88:32
	s_cselect_b32 s0, -1, 0
	.loc	1 88 38 is_stmt 0               ; layer_norm_bwd.py:88:38
	s_wait_alu depctr_sa_sdst(0)
	s_and_b32 s97, vcc_lo, s0
	v_lshlrev_b64_e32 v[36:37], 2, v[6:7]
	v_mov_b32_e32 v6, 0
	.loc	1 88 32                         ; layer_norm_bwd.py:88:32
	scratch_store_b32 off, v6, off offset:72 ; 4-byte Folded Spill
	.loc	1 90 22 is_stmt 1               ; layer_norm_bwd.py:90:22
	s_and_saveexec_b32 s1, s97
	s_cbranch_execz .LBB0_39
; %bb.38:                               ;   in Loop: Header=BB0_3 Depth=1
	.loc	1 90 27 is_stmt 0               ; layer_norm_bwd.py:90:27
	s_wait_kmcnt 0x0
	v_add_co_u32 v6, s0, s8, v36
	s_wait_alu depctr_va_sdst(0)
	v_add_co_ci_u32_e64 v7, null, s9, v37, s0
	.loc	1 90 22                         ; layer_norm_bwd.py:90:22
	global_load_b32 v6, v[6:7], off
	s_wait_loadcnt 0x0
	scratch_store_b32 off, v6, off offset:72 ; 4-byte Folded Spill
.LBB0_39:                               ;   in Loop: Header=BB0_3 Depth=1
	.loc	1 0 22                          ; layer_norm_bwd.py:0:22
	s_wait_alu depctr_sa_sdst(0)
	s_or_b32 exec_lo, exec_lo, s1
	.loc	1 89 35 is_stmt 1               ; layer_norm_bwd.py:89:35
	v_add_nc_u32_e32 v6, s61, v131
	.loc	1 87 19                         ; layer_norm_bwd.py:87:19
	s_add_co_i32 s0, s81, 36
	.loc	1 88 32                         ; layer_norm_bwd.py:88:32
	s_wait_alu depctr_sa_sdst(0)
	s_cmp_lt_i32 s0, s2
	s_cselect_b32 s0, -1, 0
	.loc	1 90 27                         ; layer_norm_bwd.py:90:27
	v_ashrrev_i32_e32 v7, 31, v6
	.loc	1 88 38                         ; layer_norm_bwd.py:88:38
	s_wait_alu depctr_sa_sdst(0)
	s_and_b32 s98, vcc_lo, s0
	s_delay_alu instid0(VALU_DEP_1)
	v_lshlrev_b64_e32 v[38:39], 2, v[6:7]
	.loc	1 90 22                         ; layer_norm_bwd.py:90:22
	s_and_saveexec_b32 s1, s98
	s_cbranch_execz .LBB0_41
; %bb.40:                               ;   in Loop: Header=BB0_3 Depth=1
	.loc	1 90 27 is_stmt 0               ; layer_norm_bwd.py:90:27
	s_wait_kmcnt 0x0
	s_delay_alu instid0(VALU_DEP_1)
	v_add_co_u32 v6, s0, s8, v38
	s_wait_alu depctr_va_sdst(0)
	v_add_co_ci_u32_e64 v7, null, s9, v39, s0
	.loc	1 90 22                         ; layer_norm_bwd.py:90:22
	global_load_b32 v6, v[6:7], off
	s_wait_loadcnt 0x0
	scratch_store_b32 off, v6, off offset:68 ; 4-byte Folded Spill
.LBB0_41:                               ;   in Loop: Header=BB0_3 Depth=1
	.loc	1 0 22                          ; layer_norm_bwd.py:0:22
	s_wait_alu depctr_sa_sdst(0)
	s_or_b32 exec_lo, exec_lo, s1
	.loc	1 89 35 is_stmt 1               ; layer_norm_bwd.py:89:35
	v_add_nc_u32_e32 v6, s60, v131
	v_mov_b32_e32 v40, 0
	.loc	1 87 19                         ; layer_norm_bwd.py:87:19
	s_add_co_i32 s0, s81, 38
	.loc	1 88 32                         ; layer_norm_bwd.py:88:32
	s_wait_alu depctr_sa_sdst(0)
	s_cmp_lt_i32 s0, s2
	.loc	1 90 27                         ; layer_norm_bwd.py:90:27
	v_ashrrev_i32_e32 v7, 31, v6
	scratch_store_b32 off, v40, off offset:76 ; 4-byte Folded Spill
	.loc	1 88 32                         ; layer_norm_bwd.py:88:32
	s_cselect_b32 s0, -1, 0
	.loc	1 88 38 is_stmt 0               ; layer_norm_bwd.py:88:38
	s_wait_alu depctr_sa_sdst(0)
	s_and_b32 s99, vcc_lo, s0
	v_lshlrev_b64_e32 v[40:41], 2, v[6:7]
	v_mov_b32_e32 v6, 0
	.loc	1 88 32                         ; layer_norm_bwd.py:88:32
	scratch_store_b32 off, v6, off offset:80 ; 4-byte Folded Spill
	.loc	1 90 22 is_stmt 1               ; layer_norm_bwd.py:90:22
	s_and_saveexec_b32 s1, s99
	s_cbranch_execz .LBB0_43
; %bb.42:                               ;   in Loop: Header=BB0_3 Depth=1
	.loc	1 90 27 is_stmt 0               ; layer_norm_bwd.py:90:27
	s_wait_kmcnt 0x0
	v_add_co_u32 v6, s0, s8, v40
	s_wait_alu depctr_va_sdst(0)
	v_add_co_ci_u32_e64 v7, null, s9, v41, s0
	.loc	1 90 22                         ; layer_norm_bwd.py:90:22
	global_load_b32 v6, v[6:7], off
	s_wait_loadcnt 0x0
	scratch_store_b32 off, v6, off offset:80 ; 4-byte Folded Spill
.LBB0_43:                               ;   in Loop: Header=BB0_3 Depth=1
	.loc	1 0 22                          ; layer_norm_bwd.py:0:22
	s_wait_alu depctr_sa_sdst(0)
	s_or_b32 exec_lo, exec_lo, s1
	.loc	1 89 35 is_stmt 1               ; layer_norm_bwd.py:89:35
	v_add_nc_u32_e32 v6, s59, v131
	.loc	1 87 19                         ; layer_norm_bwd.py:87:19
	s_add_co_i32 s0, s81, 40
	.loc	1 88 32                         ; layer_norm_bwd.py:88:32
	s_wait_alu depctr_sa_sdst(0)
	s_cmp_lt_i32 s0, s2
	s_cselect_b32 s0, -1, 0
	.loc	1 90 27                         ; layer_norm_bwd.py:90:27
	v_ashrrev_i32_e32 v7, 31, v6
	.loc	1 88 38                         ; layer_norm_bwd.py:88:38
	s_wait_alu depctr_sa_sdst(0)
	s_and_b32 s100, vcc_lo, s0
	s_delay_alu instid0(VALU_DEP_1)
	v_lshlrev_b64_e32 v[42:43], 2, v[6:7]
	.loc	1 90 22                         ; layer_norm_bwd.py:90:22
	s_and_saveexec_b32 s1, s100
	s_cbranch_execz .LBB0_45
; %bb.44:                               ;   in Loop: Header=BB0_3 Depth=1
	.loc	1 90 27 is_stmt 0               ; layer_norm_bwd.py:90:27
	s_wait_kmcnt 0x0
	s_delay_alu instid0(VALU_DEP_1)
	v_add_co_u32 v6, s0, s8, v42
	s_wait_alu depctr_va_sdst(0)
	v_add_co_ci_u32_e64 v7, null, s9, v43, s0
	.loc	1 90 22                         ; layer_norm_bwd.py:90:22
	global_load_b32 v6, v[6:7], off
	s_wait_loadcnt 0x0
	scratch_store_b32 off, v6, off offset:76 ; 4-byte Folded Spill
.LBB0_45:                               ;   in Loop: Header=BB0_3 Depth=1
	.loc	1 0 22                          ; layer_norm_bwd.py:0:22
	s_wait_alu depctr_sa_sdst(0)
	s_or_b32 exec_lo, exec_lo, s1
	.loc	1 89 35 is_stmt 1               ; layer_norm_bwd.py:89:35
	v_add_nc_u32_e32 v6, s58, v131
	v_mov_b32_e32 v44, 0
	.loc	1 87 19                         ; layer_norm_bwd.py:87:19
	s_add_co_i32 s0, s81, 42
	.loc	1 88 32                         ; layer_norm_bwd.py:88:32
	s_wait_alu depctr_sa_sdst(0)
	s_cmp_lt_i32 s0, s2
	.loc	1 90 27                         ; layer_norm_bwd.py:90:27
	v_ashrrev_i32_e32 v7, 31, v6
	scratch_store_b32 off, v44, off offset:84 ; 4-byte Folded Spill
	.loc	1 88 32                         ; layer_norm_bwd.py:88:32
	s_cselect_b32 s0, -1, 0
	.loc	1 88 38 is_stmt 0               ; layer_norm_bwd.py:88:38
	s_wait_alu depctr_sa_sdst(0)
	s_and_b32 s101, vcc_lo, s0
	v_lshlrev_b64_e32 v[44:45], 2, v[6:7]
	v_mov_b32_e32 v6, 0
	.loc	1 88 32                         ; layer_norm_bwd.py:88:32
	scratch_store_b32 off, v6, off offset:88 ; 4-byte Folded Spill
	.loc	1 90 22 is_stmt 1               ; layer_norm_bwd.py:90:22
	s_and_saveexec_b32 s1, s101
	s_cbranch_execz .LBB0_47
; %bb.46:                               ;   in Loop: Header=BB0_3 Depth=1
	.loc	1 90 27 is_stmt 0               ; layer_norm_bwd.py:90:27
	s_wait_kmcnt 0x0
	v_add_co_u32 v6, s0, s8, v44
	s_wait_alu depctr_va_sdst(0)
	v_add_co_ci_u32_e64 v7, null, s9, v45, s0
	.loc	1 90 22                         ; layer_norm_bwd.py:90:22
	global_load_b32 v6, v[6:7], off
	s_wait_loadcnt 0x0
	scratch_store_b32 off, v6, off offset:88 ; 4-byte Folded Spill
.LBB0_47:                               ;   in Loop: Header=BB0_3 Depth=1
	.loc	1 0 22                          ; layer_norm_bwd.py:0:22
	s_wait_alu depctr_sa_sdst(0)
	s_or_b32 exec_lo, exec_lo, s1
	.loc	1 89 35 is_stmt 1               ; layer_norm_bwd.py:89:35
	v_add_nc_u32_e32 v6, s57, v131
	.loc	1 87 19                         ; layer_norm_bwd.py:87:19
	s_add_co_i32 s0, s81, 44
	.loc	1 88 32                         ; layer_norm_bwd.py:88:32
	s_wait_alu depctr_sa_sdst(0)
	s_cmp_lt_i32 s0, s2
	s_cselect_b32 s0, -1, 0
	.loc	1 90 27                         ; layer_norm_bwd.py:90:27
	v_ashrrev_i32_e32 v7, 31, v6
	.loc	1 88 38                         ; layer_norm_bwd.py:88:38
	s_wait_alu depctr_sa_sdst(0)
	s_and_b32 s102, vcc_lo, s0
	s_delay_alu instid0(VALU_DEP_1)
	v_lshlrev_b64_e32 v[46:47], 2, v[6:7]
	.loc	1 90 22                         ; layer_norm_bwd.py:90:22
	s_and_saveexec_b32 s1, s102
	s_cbranch_execz .LBB0_49
; %bb.48:                               ;   in Loop: Header=BB0_3 Depth=1
	.loc	1 90 27 is_stmt 0               ; layer_norm_bwd.py:90:27
	s_wait_kmcnt 0x0
	s_delay_alu instid0(VALU_DEP_1)
	v_add_co_u32 v6, s0, s8, v46
	s_wait_alu depctr_va_sdst(0)
	v_add_co_ci_u32_e64 v7, null, s9, v47, s0
	.loc	1 90 22                         ; layer_norm_bwd.py:90:22
	global_load_b32 v6, v[6:7], off
	s_wait_loadcnt 0x0
	scratch_store_b32 off, v6, off offset:84 ; 4-byte Folded Spill
.LBB0_49:                               ;   in Loop: Header=BB0_3 Depth=1
	.loc	1 0 22                          ; layer_norm_bwd.py:0:22
	s_wait_alu depctr_sa_sdst(0)
	s_or_b32 exec_lo, exec_lo, s1
	.loc	1 89 35 is_stmt 1               ; layer_norm_bwd.py:89:35
	v_add_nc_u32_e32 v6, s56, v131
	v_mov_b32_e32 v48, 0
	.loc	1 87 19                         ; layer_norm_bwd.py:87:19
	s_add_co_i32 s0, s81, 46
	.loc	1 88 32                         ; layer_norm_bwd.py:88:32
	s_wait_alu depctr_sa_sdst(0)
	s_cmp_lt_i32 s0, s2
	.loc	1 90 27                         ; layer_norm_bwd.py:90:27
	v_ashrrev_i32_e32 v7, 31, v6
	scratch_store_b32 off, v48, off offset:92 ; 4-byte Folded Spill
	.loc	1 88 32                         ; layer_norm_bwd.py:88:32
	s_cselect_b32 s0, -1, 0
	.loc	1 88 38 is_stmt 0               ; layer_norm_bwd.py:88:38
	s_wait_alu depctr_sa_sdst(0)
	s_and_b32 s103, vcc_lo, s0
	v_lshlrev_b64_e32 v[48:49], 2, v[6:7]
	v_mov_b32_e32 v6, 0
	.loc	1 88 32                         ; layer_norm_bwd.py:88:32
	scratch_store_b32 off, v6, off offset:96 ; 4-byte Folded Spill
	.loc	1 90 22 is_stmt 1               ; layer_norm_bwd.py:90:22
	s_and_saveexec_b32 s1, s103
	s_cbranch_execz .LBB0_51
; %bb.50:                               ;   in Loop: Header=BB0_3 Depth=1
	.loc	1 90 27 is_stmt 0               ; layer_norm_bwd.py:90:27
	s_wait_kmcnt 0x0
	v_add_co_u32 v6, s0, s8, v48
	s_wait_alu depctr_va_sdst(0)
	v_add_co_ci_u32_e64 v7, null, s9, v49, s0
	.loc	1 90 22                         ; layer_norm_bwd.py:90:22
	global_load_b32 v6, v[6:7], off
	s_wait_loadcnt 0x0
	scratch_store_b32 off, v6, off offset:96 ; 4-byte Folded Spill
.LBB0_51:                               ;   in Loop: Header=BB0_3 Depth=1
	.loc	1 0 22                          ; layer_norm_bwd.py:0:22
	s_wait_alu depctr_sa_sdst(0)
	s_or_b32 exec_lo, exec_lo, s1
	.loc	1 89 35 is_stmt 1               ; layer_norm_bwd.py:89:35
	v_add_nc_u32_e32 v6, s55, v131
	.loc	1 87 19                         ; layer_norm_bwd.py:87:19
	s_add_co_i32 s0, s81, 48
	.loc	1 88 32                         ; layer_norm_bwd.py:88:32
	s_wait_alu depctr_sa_sdst(0)
	s_cmp_lt_i32 s0, s2
	s_cselect_b32 s0, -1, 0
	.loc	1 90 27                         ; layer_norm_bwd.py:90:27
	v_ashrrev_i32_e32 v7, 31, v6
	.loc	1 88 38                         ; layer_norm_bwd.py:88:38
	s_wait_alu depctr_sa_sdst(0)
	s_and_b32 s104, vcc_lo, s0
	s_delay_alu instid0(VALU_DEP_1)
	v_lshlrev_b64_e32 v[50:51], 2, v[6:7]
	.loc	1 90 22                         ; layer_norm_bwd.py:90:22
	s_and_saveexec_b32 s1, s104
	s_cbranch_execz .LBB0_53
; %bb.52:                               ;   in Loop: Header=BB0_3 Depth=1
	.loc	1 90 27 is_stmt 0               ; layer_norm_bwd.py:90:27
	s_wait_kmcnt 0x0
	s_delay_alu instid0(VALU_DEP_1)
	v_add_co_u32 v6, s0, s8, v50
	s_wait_alu depctr_va_sdst(0)
	v_add_co_ci_u32_e64 v7, null, s9, v51, s0
	.loc	1 90 22                         ; layer_norm_bwd.py:90:22
	global_load_b32 v6, v[6:7], off
	s_wait_loadcnt 0x0
	scratch_store_b32 off, v6, off offset:92 ; 4-byte Folded Spill
.LBB0_53:                               ;   in Loop: Header=BB0_3 Depth=1
	.loc	1 0 22                          ; layer_norm_bwd.py:0:22
	s_wait_alu depctr_sa_sdst(0)
	s_or_b32 exec_lo, exec_lo, s1
	.loc	1 89 35 is_stmt 1               ; layer_norm_bwd.py:89:35
	v_add_nc_u32_e32 v6, s54, v131
	v_mov_b32_e32 v52, 0
	.loc	1 87 19                         ; layer_norm_bwd.py:87:19
	s_add_co_i32 s0, s81, 50
	.loc	1 88 32                         ; layer_norm_bwd.py:88:32
	s_wait_alu depctr_sa_sdst(0)
	s_cmp_lt_i32 s0, s2
	.loc	1 90 27                         ; layer_norm_bwd.py:90:27
	v_ashrrev_i32_e32 v7, 31, v6
	scratch_store_b32 off, v52, off offset:100 ; 4-byte Folded Spill
	.loc	1 88 32                         ; layer_norm_bwd.py:88:32
	s_cselect_b32 s0, -1, 0
	.loc	1 88 38 is_stmt 0               ; layer_norm_bwd.py:88:38
	s_wait_alu depctr_sa_sdst(0)
	s_and_b32 vcc_hi, vcc_lo, s0
	v_lshlrev_b64_e32 v[52:53], 2, v[6:7]
	v_mov_b32_e32 v6, 0
	.loc	1 88 32                         ; layer_norm_bwd.py:88:32
	scratch_store_b32 off, v6, off offset:104 ; 4-byte Folded Spill
	.loc	1 90 22 is_stmt 1               ; layer_norm_bwd.py:90:22
	s_and_saveexec_b32 s1, vcc_hi
	s_cbranch_execz .LBB0_55
; %bb.54:                               ;   in Loop: Header=BB0_3 Depth=1
	.loc	1 90 27 is_stmt 0               ; layer_norm_bwd.py:90:27
	s_wait_kmcnt 0x0
	v_add_co_u32 v6, s0, s8, v52
	s_wait_alu depctr_va_sdst(0)
	v_add_co_ci_u32_e64 v7, null, s9, v53, s0
	.loc	1 90 22                         ; layer_norm_bwd.py:90:22
	global_load_b32 v6, v[6:7], off
	s_wait_loadcnt 0x0
	scratch_store_b32 off, v6, off offset:104 ; 4-byte Folded Spill
.LBB0_55:                               ;   in Loop: Header=BB0_3 Depth=1
	.loc	1 0 22                          ; layer_norm_bwd.py:0:22
	s_wait_alu depctr_sa_sdst(0)
	s_or_b32 exec_lo, exec_lo, s1
	.loc	1 89 35 is_stmt 1               ; layer_norm_bwd.py:89:35
	v_add_nc_u32_e32 v6, s53, v131
	.loc	1 87 19                         ; layer_norm_bwd.py:87:19
	s_add_co_i32 s0, s81, 52
	.loc	1 88 32                         ; layer_norm_bwd.py:88:32
	s_wait_alu depctr_sa_sdst(0)
	s_cmp_lt_i32 s0, s2
	s_cselect_b32 s0, -1, 0
	.loc	1 90 27                         ; layer_norm_bwd.py:90:27
	v_ashrrev_i32_e32 v7, 31, v6
	.loc	1 88 38                         ; layer_norm_bwd.py:88:38
	s_wait_alu depctr_sa_sdst(0)
	s_and_b32 s4, vcc_lo, s0
	s_delay_alu instid0(VALU_DEP_1)
	v_lshlrev_b64_e32 v[54:55], 2, v[6:7]
	.loc	1 90 22                         ; layer_norm_bwd.py:90:22
	s_wait_alu depctr_sa_sdst(0)
	s_and_saveexec_b32 s1, s4
	s_cbranch_execz .LBB0_57
; %bb.56:                               ;   in Loop: Header=BB0_3 Depth=1
	.loc	1 90 27 is_stmt 0               ; layer_norm_bwd.py:90:27
	s_wait_kmcnt 0x0
	s_delay_alu instid0(VALU_DEP_1)
	v_add_co_u32 v6, s0, s8, v54
	s_wait_alu depctr_va_sdst(0)
	v_add_co_ci_u32_e64 v7, null, s9, v55, s0
	.loc	1 90 22                         ; layer_norm_bwd.py:90:22
	global_load_b32 v6, v[6:7], off
	s_wait_loadcnt 0x0
	scratch_store_b32 off, v6, off offset:100 ; 4-byte Folded Spill
.LBB0_57:                               ;   in Loop: Header=BB0_3 Depth=1
	.loc	1 0 22                          ; layer_norm_bwd.py:0:22
	s_wait_alu depctr_sa_sdst(0)
	s_or_b32 exec_lo, exec_lo, s1
	.loc	1 89 35 is_stmt 1               ; layer_norm_bwd.py:89:35
	v_add_nc_u32_e32 v6, s52, v131
	v_mov_b32_e32 v56, 0
	.loc	1 87 19                         ; layer_norm_bwd.py:87:19
	s_add_co_i32 s0, s81, 54
	.loc	1 88 32                         ; layer_norm_bwd.py:88:32
	s_wait_alu depctr_sa_sdst(0)
	s_cmp_lt_i32 s0, s2
	.loc	1 90 27                         ; layer_norm_bwd.py:90:27
	v_ashrrev_i32_e32 v7, 31, v6
	scratch_store_b32 off, v56, off offset:108 ; 4-byte Folded Spill
	.loc	1 88 32                         ; layer_norm_bwd.py:88:32
	s_cselect_b32 s0, -1, 0
	.loc	1 88 38 is_stmt 0               ; layer_norm_bwd.py:88:38
	s_wait_alu depctr_sa_sdst(0)
	s_and_b32 s5, vcc_lo, s0
	v_lshlrev_b64_e32 v[56:57], 2, v[6:7]
	v_mov_b32_e32 v6, 0
	.loc	1 88 32                         ; layer_norm_bwd.py:88:32
	scratch_store_b32 off, v6, off offset:112 ; 4-byte Folded Spill
	.loc	1 90 22 is_stmt 1               ; layer_norm_bwd.py:90:22
	s_wait_alu depctr_sa_sdst(0)
	s_and_saveexec_b32 s1, s5
	s_cbranch_execz .LBB0_59
; %bb.58:                               ;   in Loop: Header=BB0_3 Depth=1
	.loc	1 90 27 is_stmt 0               ; layer_norm_bwd.py:90:27
	s_wait_kmcnt 0x0
	v_add_co_u32 v6, s0, s8, v56
	s_wait_alu depctr_va_sdst(0)
	v_add_co_ci_u32_e64 v7, null, s9, v57, s0
	.loc	1 90 22                         ; layer_norm_bwd.py:90:22
	global_load_b32 v6, v[6:7], off
	s_wait_loadcnt 0x0
	scratch_store_b32 off, v6, off offset:112 ; 4-byte Folded Spill
.LBB0_59:                               ;   in Loop: Header=BB0_3 Depth=1
	.loc	1 0 22                          ; layer_norm_bwd.py:0:22
	s_wait_alu depctr_sa_sdst(0)
	s_or_b32 exec_lo, exec_lo, s1
	.loc	1 89 35 is_stmt 1               ; layer_norm_bwd.py:89:35
	v_add_nc_u32_e32 v6, s51, v131
	.loc	1 87 19                         ; layer_norm_bwd.py:87:19
	s_add_co_i32 s0, s81, 56
	.loc	1 88 32                         ; layer_norm_bwd.py:88:32
	s_wait_alu depctr_sa_sdst(0)
	s_cmp_lt_i32 s0, s2
	s_cselect_b32 s0, -1, 0
	.loc	1 90 27                         ; layer_norm_bwd.py:90:27
	v_ashrrev_i32_e32 v7, 31, v6
	.loc	1 88 38                         ; layer_norm_bwd.py:88:38
	s_wait_alu depctr_sa_sdst(0)
	s_and_b32 s6, vcc_lo, s0
	s_delay_alu instid0(VALU_DEP_1)
	v_lshlrev_b64_e32 v[58:59], 2, v[6:7]
	.loc	1 90 22                         ; layer_norm_bwd.py:90:22
	s_wait_alu depctr_sa_sdst(0)
	s_and_saveexec_b32 s1, s6
	s_cbranch_execz .LBB0_61
; %bb.60:                               ;   in Loop: Header=BB0_3 Depth=1
	.loc	1 90 27 is_stmt 0               ; layer_norm_bwd.py:90:27
	s_wait_kmcnt 0x0
	s_delay_alu instid0(VALU_DEP_1)
	v_add_co_u32 v6, s0, s8, v58
	s_wait_alu depctr_va_sdst(0)
	v_add_co_ci_u32_e64 v7, null, s9, v59, s0
	.loc	1 90 22                         ; layer_norm_bwd.py:90:22
	global_load_b32 v6, v[6:7], off
	s_wait_loadcnt 0x0
	scratch_store_b32 off, v6, off offset:108 ; 4-byte Folded Spill
.LBB0_61:                               ;   in Loop: Header=BB0_3 Depth=1
	.loc	1 0 22                          ; layer_norm_bwd.py:0:22
	s_wait_alu depctr_sa_sdst(0)
	s_or_b32 exec_lo, exec_lo, s1
	.loc	1 89 35 is_stmt 1               ; layer_norm_bwd.py:89:35
	v_add_nc_u32_e32 v6, s50, v131
	v_mov_b32_e32 v60, 0
	.loc	1 87 19                         ; layer_norm_bwd.py:87:19
	s_add_co_i32 s0, s81, 58
	.loc	1 88 32                         ; layer_norm_bwd.py:88:32
	s_wait_alu depctr_sa_sdst(0)
	s_cmp_lt_i32 s0, s2
	.loc	1 90 27                         ; layer_norm_bwd.py:90:27
	v_ashrrev_i32_e32 v7, 31, v6
	scratch_store_b32 off, v60, off offset:116 ; 4-byte Folded Spill
	.loc	1 88 32                         ; layer_norm_bwd.py:88:32
	s_cselect_b32 s0, -1, 0
	.loc	1 88 38 is_stmt 0               ; layer_norm_bwd.py:88:38
	s_wait_alu depctr_sa_sdst(0)
	s_and_b32 s7, vcc_lo, s0
	v_lshlrev_b64_e32 v[60:61], 2, v[6:7]
	v_mov_b32_e32 v6, 0
	.loc	1 88 32                         ; layer_norm_bwd.py:88:32
	scratch_store_b32 off, v6, off offset:120 ; 4-byte Folded Spill
	.loc	1 90 22 is_stmt 1               ; layer_norm_bwd.py:90:22
	s_wait_alu depctr_sa_sdst(0)
	s_and_saveexec_b32 s1, s7
	s_cbranch_execz .LBB0_63
; %bb.62:                               ;   in Loop: Header=BB0_3 Depth=1
	.loc	1 90 27 is_stmt 0               ; layer_norm_bwd.py:90:27
	s_wait_kmcnt 0x0
	v_add_co_u32 v6, s0, s8, v60
	s_wait_alu depctr_va_sdst(0)
	v_add_co_ci_u32_e64 v7, null, s9, v61, s0
	.loc	1 90 22                         ; layer_norm_bwd.py:90:22
	global_load_b32 v6, v[6:7], off
	s_wait_loadcnt 0x0
	scratch_store_b32 off, v6, off offset:120 ; 4-byte Folded Spill
.LBB0_63:                               ;   in Loop: Header=BB0_3 Depth=1
	.loc	1 0 22                          ; layer_norm_bwd.py:0:22
	s_wait_alu depctr_sa_sdst(0)
	s_or_b32 exec_lo, exec_lo, s1
	.loc	1 89 35 is_stmt 1               ; layer_norm_bwd.py:89:35
	v_add_nc_u32_e32 v6, s49, v131
	.loc	1 87 19                         ; layer_norm_bwd.py:87:19
	s_add_co_i32 s0, s81, 60
	.loc	1 88 32                         ; layer_norm_bwd.py:88:32
	s_wait_alu depctr_sa_sdst(0)
	s_cmp_lt_i32 s0, s2
	s_cselect_b32 s0, -1, 0
	.loc	1 90 27                         ; layer_norm_bwd.py:90:27
	v_ashrrev_i32_e32 v7, 31, v6
	.loc	1 88 38                         ; layer_norm_bwd.py:88:38
	s_wait_alu depctr_sa_sdst(0)
	s_and_b32 s12, vcc_lo, s0
	s_delay_alu instid0(VALU_DEP_1)
	v_lshlrev_b64_e32 v[62:63], 2, v[6:7]
	.loc	1 90 22                         ; layer_norm_bwd.py:90:22
	s_and_saveexec_b32 s1, s12
	s_cbranch_execz .LBB0_65
; %bb.64:                               ;   in Loop: Header=BB0_3 Depth=1
	.loc	1 90 27 is_stmt 0               ; layer_norm_bwd.py:90:27
	s_wait_kmcnt 0x0
	s_delay_alu instid0(VALU_DEP_1)
	v_add_co_u32 v6, s0, s8, v62
	s_wait_alu depctr_va_sdst(0)
	v_add_co_ci_u32_e64 v7, null, s9, v63, s0
	.loc	1 90 22                         ; layer_norm_bwd.py:90:22
	global_load_b32 v6, v[6:7], off
	s_wait_loadcnt 0x0
	scratch_store_b32 off, v6, off offset:116 ; 4-byte Folded Spill
.LBB0_65:                               ;   in Loop: Header=BB0_3 Depth=1
	.loc	1 0 22                          ; layer_norm_bwd.py:0:22
	s_wait_alu depctr_sa_sdst(0)
	s_or_b32 exec_lo, exec_lo, s1
	.loc	1 89 35 is_stmt 1               ; layer_norm_bwd.py:89:35
	v_add_nc_u32_e32 v6, s48, v131
	v_mov_b32_e32 v64, 0
	.loc	1 87 19                         ; layer_norm_bwd.py:87:19
	s_add_co_i32 s0, s81, 62
	.loc	1 88 32                         ; layer_norm_bwd.py:88:32
	s_wait_alu depctr_sa_sdst(0)
	s_cmp_lt_i32 s0, s2
	.loc	1 90 27                         ; layer_norm_bwd.py:90:27
	v_ashrrev_i32_e32 v7, 31, v6
	scratch_store_b32 off, v64, off offset:124 ; 4-byte Folded Spill
	.loc	1 88 32                         ; layer_norm_bwd.py:88:32
	s_cselect_b32 s0, -1, 0
	.loc	1 88 38 is_stmt 0               ; layer_norm_bwd.py:88:38
	s_wait_alu depctr_sa_sdst(0)
	s_and_b32 s13, vcc_lo, s0
	v_lshlrev_b64_e32 v[64:65], 2, v[6:7]
	v_mov_b32_e32 v6, 0
	.loc	1 88 32                         ; layer_norm_bwd.py:88:32
	scratch_store_b32 off, v6, off offset:128 ; 4-byte Folded Spill
	.loc	1 90 22 is_stmt 1               ; layer_norm_bwd.py:90:22
	s_and_saveexec_b32 s1, s13
	s_cbranch_execz .LBB0_67
; %bb.66:                               ;   in Loop: Header=BB0_3 Depth=1
	.loc	1 90 27 is_stmt 0               ; layer_norm_bwd.py:90:27
	s_wait_kmcnt 0x0
	v_add_co_u32 v6, s0, s8, v64
	s_wait_alu depctr_va_sdst(0)
	v_add_co_ci_u32_e64 v7, null, s9, v65, s0
	.loc	1 90 22                         ; layer_norm_bwd.py:90:22
	global_load_b32 v6, v[6:7], off
	s_wait_loadcnt 0x0
	scratch_store_b32 off, v6, off offset:128 ; 4-byte Folded Spill
.LBB0_67:                               ;   in Loop: Header=BB0_3 Depth=1
	.loc	1 0 22                          ; layer_norm_bwd.py:0:22
	s_wait_alu depctr_sa_sdst(0)
	s_or_b32 exec_lo, exec_lo, s1
	.loc	1 89 35 is_stmt 1               ; layer_norm_bwd.py:89:35
	v_add_nc_u32_e32 v6, s47, v131
	.loc	1 87 19                         ; layer_norm_bwd.py:87:19
	s_add_co_i32 s0, s81, 64
	.loc	1 88 32                         ; layer_norm_bwd.py:88:32
	s_wait_alu depctr_sa_sdst(0)
	s_cmp_lt_i32 s0, s2
	s_cselect_b32 s0, -1, 0
	.loc	1 90 27                         ; layer_norm_bwd.py:90:27
	v_ashrrev_i32_e32 v7, 31, v6
	.loc	1 88 38                         ; layer_norm_bwd.py:88:38
	s_wait_alu depctr_sa_sdst(0)
	s_and_b32 s79, vcc_lo, s0
	s_delay_alu instid0(VALU_DEP_1)
	v_lshlrev_b64_e32 v[66:67], 2, v[6:7]
	.loc	1 90 22                         ; layer_norm_bwd.py:90:22
	s_and_saveexec_b32 s1, s79
	s_cbranch_execz .LBB0_69
; %bb.68:                               ;   in Loop: Header=BB0_3 Depth=1
	.loc	1 90 27 is_stmt 0               ; layer_norm_bwd.py:90:27
	s_wait_kmcnt 0x0
	s_delay_alu instid0(VALU_DEP_1)
	v_add_co_u32 v6, s0, s8, v66
	s_wait_alu depctr_va_sdst(0)
	v_add_co_ci_u32_e64 v7, null, s9, v67, s0
	.loc	1 90 22                         ; layer_norm_bwd.py:90:22
	global_load_b32 v6, v[6:7], off
	s_wait_loadcnt 0x0
	scratch_store_b32 off, v6, off offset:124 ; 4-byte Folded Spill
.LBB0_69:                               ;   in Loop: Header=BB0_3 Depth=1
	.loc	1 0 22                          ; layer_norm_bwd.py:0:22
	s_wait_alu depctr_sa_sdst(0)
	s_or_b32 exec_lo, exec_lo, s1
	.loc	1 89 35 is_stmt 1               ; layer_norm_bwd.py:89:35
	v_add_nc_u32_e32 v6, s46, v131
	v_mov_b32_e32 v68, 0
	.loc	1 87 19                         ; layer_norm_bwd.py:87:19
	s_add_co_i32 s0, s81, 0x42
	.loc	1 88 32                         ; layer_norm_bwd.py:88:32
	s_wait_alu depctr_sa_sdst(0)
	s_cmp_lt_i32 s0, s2
	.loc	1 90 27                         ; layer_norm_bwd.py:90:27
	v_ashrrev_i32_e32 v7, 31, v6
	scratch_store_b32 off, v68, off offset:132 ; 4-byte Folded Spill
	.loc	1 88 32                         ; layer_norm_bwd.py:88:32
	s_cselect_b32 s0, -1, 0
	.loc	1 88 38 is_stmt 0               ; layer_norm_bwd.py:88:38
	s_wait_alu depctr_sa_sdst(0)
	s_and_b32 s80, vcc_lo, s0
	v_lshlrev_b64_e32 v[68:69], 2, v[6:7]
	v_mov_b32_e32 v6, 0
	.loc	1 88 32                         ; layer_norm_bwd.py:88:32
	scratch_store_b32 off, v6, off offset:136 ; 4-byte Folded Spill
	.loc	1 90 22 is_stmt 1               ; layer_norm_bwd.py:90:22
	s_and_saveexec_b32 s1, s80
	s_cbranch_execz .LBB0_71
; %bb.70:                               ;   in Loop: Header=BB0_3 Depth=1
	.loc	1 90 27 is_stmt 0               ; layer_norm_bwd.py:90:27
	s_wait_kmcnt 0x0
	v_add_co_u32 v6, s0, s8, v68
	s_wait_alu depctr_va_sdst(0)
	v_add_co_ci_u32_e64 v7, null, s9, v69, s0
	.loc	1 90 22                         ; layer_norm_bwd.py:90:22
	global_load_b32 v6, v[6:7], off
	s_wait_loadcnt 0x0
	scratch_store_b32 off, v6, off offset:136 ; 4-byte Folded Spill
.LBB0_71:                               ;   in Loop: Header=BB0_3 Depth=1
	.loc	1 0 22                          ; layer_norm_bwd.py:0:22
	s_wait_alu depctr_sa_sdst(0)
	s_or_b32 exec_lo, exec_lo, s1
	.loc	1 89 35 is_stmt 1               ; layer_norm_bwd.py:89:35
	v_add_nc_u32_e32 v6, s45, v131
	.loc	1 87 19                         ; layer_norm_bwd.py:87:19
	s_add_co_i32 s0, s81, 0x44
	.loc	1 88 32                         ; layer_norm_bwd.py:88:32
	s_wait_alu depctr_sa_sdst(0)
	s_cmp_lt_i32 s0, s2
	s_cselect_b32 s0, -1, 0
	.loc	1 90 27                         ; layer_norm_bwd.py:90:27
	v_ashrrev_i32_e32 v7, 31, v6
	.loc	1 88 38                         ; layer_norm_bwd.py:88:38
	s_wait_alu depctr_sa_sdst(0)
	s_and_b32 s82, vcc_lo, s0
	s_delay_alu instid0(VALU_DEP_1)
	v_lshlrev_b64_e32 v[70:71], 2, v[6:7]
	.loc	1 90 22                         ; layer_norm_bwd.py:90:22
	s_and_saveexec_b32 s1, s82
	s_cbranch_execz .LBB0_73
; %bb.72:                               ;   in Loop: Header=BB0_3 Depth=1
	.loc	1 90 27 is_stmt 0               ; layer_norm_bwd.py:90:27
	s_wait_kmcnt 0x0
	s_delay_alu instid0(VALU_DEP_1)
	v_add_co_u32 v6, s0, s8, v70
	s_wait_alu depctr_va_sdst(0)
	v_add_co_ci_u32_e64 v7, null, s9, v71, s0
	.loc	1 90 22                         ; layer_norm_bwd.py:90:22
	global_load_b32 v6, v[6:7], off
	s_wait_loadcnt 0x0
	scratch_store_b32 off, v6, off offset:132 ; 4-byte Folded Spill
.LBB0_73:                               ;   in Loop: Header=BB0_3 Depth=1
	.loc	1 0 22                          ; layer_norm_bwd.py:0:22
	s_wait_alu depctr_sa_sdst(0)
	s_or_b32 exec_lo, exec_lo, s1
	.loc	1 89 35 is_stmt 1               ; layer_norm_bwd.py:89:35
	v_add_nc_u32_e32 v6, s44, v131
	v_mov_b32_e32 v72, 0
	.loc	1 87 19                         ; layer_norm_bwd.py:87:19
	s_add_co_i32 s0, s81, 0x46
	.loc	1 88 32                         ; layer_norm_bwd.py:88:32
	s_wait_alu depctr_sa_sdst(0)
	s_cmp_lt_i32 s0, s2
	.loc	1 90 27                         ; layer_norm_bwd.py:90:27
	v_ashrrev_i32_e32 v7, 31, v6
	scratch_store_b32 off, v72, off offset:140 ; 4-byte Folded Spill
	.loc	1 88 32                         ; layer_norm_bwd.py:88:32
	s_cselect_b32 s0, -1, 0
	.loc	1 88 38 is_stmt 0               ; layer_norm_bwd.py:88:38
	s_wait_alu depctr_sa_sdst(0)
	s_and_b32 s83, vcc_lo, s0
	v_lshlrev_b64_e32 v[72:73], 2, v[6:7]
	v_mov_b32_e32 v6, 0
	.loc	1 88 32                         ; layer_norm_bwd.py:88:32
	scratch_store_b32 off, v6, off offset:144 ; 4-byte Folded Spill
	.loc	1 90 22 is_stmt 1               ; layer_norm_bwd.py:90:22
	s_and_saveexec_b32 s1, s83
	s_cbranch_execz .LBB0_75
; %bb.74:                               ;   in Loop: Header=BB0_3 Depth=1
	.loc	1 90 27 is_stmt 0               ; layer_norm_bwd.py:90:27
	s_wait_kmcnt 0x0
	v_add_co_u32 v6, s0, s8, v72
	s_wait_alu depctr_va_sdst(0)
	v_add_co_ci_u32_e64 v7, null, s9, v73, s0
	.loc	1 90 22                         ; layer_norm_bwd.py:90:22
	global_load_b32 v6, v[6:7], off
	s_wait_loadcnt 0x0
	scratch_store_b32 off, v6, off offset:144 ; 4-byte Folded Spill
.LBB0_75:                               ;   in Loop: Header=BB0_3 Depth=1
	.loc	1 0 22                          ; layer_norm_bwd.py:0:22
	s_wait_alu depctr_sa_sdst(0)
	s_or_b32 exec_lo, exec_lo, s1
	.loc	1 89 35 is_stmt 1               ; layer_norm_bwd.py:89:35
	v_add_nc_u32_e32 v6, s43, v131
	.loc	1 87 19                         ; layer_norm_bwd.py:87:19
	s_add_co_i32 s0, s81, 0x48
	.loc	1 88 32                         ; layer_norm_bwd.py:88:32
	s_wait_alu depctr_sa_sdst(0)
	s_cmp_lt_i32 s0, s2
	s_cselect_b32 s0, -1, 0
	.loc	1 90 27                         ; layer_norm_bwd.py:90:27
	v_ashrrev_i32_e32 v7, 31, v6
	.loc	1 88 38                         ; layer_norm_bwd.py:88:38
	s_wait_alu depctr_sa_sdst(0)
	s_and_b32 s84, vcc_lo, s0
	s_delay_alu instid0(VALU_DEP_1)
	v_lshlrev_b64_e32 v[74:75], 2, v[6:7]
	.loc	1 90 22                         ; layer_norm_bwd.py:90:22
	s_and_saveexec_b32 s1, s84
	s_cbranch_execz .LBB0_77
; %bb.76:                               ;   in Loop: Header=BB0_3 Depth=1
	.loc	1 90 27 is_stmt 0               ; layer_norm_bwd.py:90:27
	s_wait_kmcnt 0x0
	s_delay_alu instid0(VALU_DEP_1)
	v_add_co_u32 v6, s0, s8, v74
	s_wait_alu depctr_va_sdst(0)
	v_add_co_ci_u32_e64 v7, null, s9, v75, s0
	.loc	1 90 22                         ; layer_norm_bwd.py:90:22
	global_load_b32 v6, v[6:7], off
	s_wait_loadcnt 0x0
	scratch_store_b32 off, v6, off offset:140 ; 4-byte Folded Spill
.LBB0_77:                               ;   in Loop: Header=BB0_3 Depth=1
	.loc	1 0 22                          ; layer_norm_bwd.py:0:22
	s_wait_alu depctr_sa_sdst(0)
	s_or_b32 exec_lo, exec_lo, s1
	.loc	1 89 35 is_stmt 1               ; layer_norm_bwd.py:89:35
	v_add_nc_u32_e32 v6, s42, v131
	v_mov_b32_e32 v76, 0
	.loc	1 87 19                         ; layer_norm_bwd.py:87:19
	s_add_co_i32 s0, s81, 0x4a
	v_mov_b32_e32 v172, 0
	.loc	1 88 32                         ; layer_norm_bwd.py:88:32
	s_wait_alu depctr_sa_sdst(0)
	s_cmp_lt_i32 s0, s2
	.loc	1 90 27                         ; layer_norm_bwd.py:90:27
	v_ashrrev_i32_e32 v7, 31, v6
	scratch_store_b32 off, v76, off offset:148 ; 4-byte Folded Spill
	.loc	1 88 32                         ; layer_norm_bwd.py:88:32
	s_cselect_b32 s0, -1, 0
	.loc	1 88 38 is_stmt 0               ; layer_norm_bwd.py:88:38
	s_wait_alu depctr_sa_sdst(0)
	s_and_b32 s85, vcc_lo, s0
	v_lshlrev_b64_e32 v[76:77], 2, v[6:7]
	.loc	1 90 22 is_stmt 1               ; layer_norm_bwd.py:90:22
	s_and_saveexec_b32 s1, s85
	s_cbranch_execz .LBB0_79
; %bb.78:                               ;   in Loop: Header=BB0_3 Depth=1
	.loc	1 90 27 is_stmt 0               ; layer_norm_bwd.py:90:27
	s_wait_kmcnt 0x0
	s_delay_alu instid0(VALU_DEP_1)
	v_add_co_u32 v6, s0, s8, v76
	s_wait_alu depctr_va_sdst(0)
	v_add_co_ci_u32_e64 v7, null, s9, v77, s0
	.loc	1 90 22                         ; layer_norm_bwd.py:90:22
	global_load_b32 v172, v[6:7], off
.LBB0_79:                               ;   in Loop: Header=BB0_3 Depth=1
	.loc	1 0 22                          ; layer_norm_bwd.py:0:22
	s_wait_alu depctr_sa_sdst(0)
	s_or_b32 exec_lo, exec_lo, s1
	.loc	1 89 35 is_stmt 1               ; layer_norm_bwd.py:89:35
	v_add_nc_u32_e32 v6, s41, v131
	.loc	1 87 19                         ; layer_norm_bwd.py:87:19
	s_add_co_i32 s0, s81, 0x4c
	.loc	1 88 32                         ; layer_norm_bwd.py:88:32
	s_wait_alu depctr_sa_sdst(0)
	s_cmp_lt_i32 s0, s2
	s_cselect_b32 s0, -1, 0
	.loc	1 90 27                         ; layer_norm_bwd.py:90:27
	v_ashrrev_i32_e32 v7, 31, v6
	.loc	1 88 38                         ; layer_norm_bwd.py:88:38
	s_wait_alu depctr_sa_sdst(0)
	s_and_b32 s86, vcc_lo, s0
	s_delay_alu instid0(VALU_DEP_1)
	v_lshlrev_b64_e32 v[78:79], 2, v[6:7]
	.loc	1 90 22                         ; layer_norm_bwd.py:90:22
	s_and_saveexec_b32 s1, s86
	s_cbranch_execz .LBB0_81
; %bb.80:                               ;   in Loop: Header=BB0_3 Depth=1
	.loc	1 90 27 is_stmt 0               ; layer_norm_bwd.py:90:27
	s_wait_kmcnt 0x0
	s_delay_alu instid0(VALU_DEP_1)
	v_add_co_u32 v6, s0, s8, v78
	s_wait_alu depctr_va_sdst(0)
	v_add_co_ci_u32_e64 v7, null, s9, v79, s0
	.loc	1 90 22                         ; layer_norm_bwd.py:90:22
	global_load_b32 v6, v[6:7], off
	s_wait_loadcnt 0x0
	scratch_store_b32 off, v6, off offset:148 ; 4-byte Folded Spill
.LBB0_81:                               ;   in Loop: Header=BB0_3 Depth=1
	.loc	1 0 22                          ; layer_norm_bwd.py:0:22
	s_wait_alu depctr_sa_sdst(0)
	s_or_b32 exec_lo, exec_lo, s1
	.loc	1 89 35 is_stmt 1               ; layer_norm_bwd.py:89:35
	v_add_nc_u32_e32 v6, s40, v131
	.loc	1 87 19                         ; layer_norm_bwd.py:87:19
	s_add_co_i32 s0, s81, 0x4e
	v_mov_b32_e32 v8, 0
	.loc	1 88 32                         ; layer_norm_bwd.py:88:32
	s_wait_alu depctr_sa_sdst(0)
	s_cmp_lt_i32 s0, s2
	s_cselect_b32 s0, -1, 0
	.loc	1 90 27                         ; layer_norm_bwd.py:90:27
	v_ashrrev_i32_e32 v7, 31, v6
	.loc	1 88 38                         ; layer_norm_bwd.py:88:38
	s_wait_alu depctr_sa_sdst(0)
	s_and_b32 s87, vcc_lo, s0
	s_delay_alu instid0(VALU_DEP_1)
	v_lshlrev_b64_e32 v[80:81], 2, v[6:7]
	v_mov_b32_e32 v6, 0
	.loc	1 88 32 is_stmt 0               ; layer_norm_bwd.py:88:32
	s_clause 0x1                            ; 8-byte Folded Spill
	scratch_store_b32 off, v8, off offset:152
	scratch_store_b32 off, v6, off offset:156
	.loc	1 90 22 is_stmt 1               ; layer_norm_bwd.py:90:22
	s_and_saveexec_b32 s1, s87
	s_cbranch_execz .LBB0_83
; %bb.82:                               ;   in Loop: Header=BB0_3 Depth=1
	.loc	1 90 27 is_stmt 0               ; layer_norm_bwd.py:90:27
	s_wait_kmcnt 0x0
	v_add_co_u32 v6, s0, s8, v80
	s_wait_alu depctr_va_sdst(0)
	v_add_co_ci_u32_e64 v7, null, s9, v81, s0
	.loc	1 90 22                         ; layer_norm_bwd.py:90:22
	global_load_b32 v6, v[6:7], off
	s_wait_loadcnt 0x0
	scratch_store_b32 off, v6, off offset:156 ; 4-byte Folded Spill
.LBB0_83:                               ;   in Loop: Header=BB0_3 Depth=1
	.loc	1 0 22                          ; layer_norm_bwd.py:0:22
	s_wait_alu depctr_sa_sdst(0)
	s_or_b32 exec_lo, exec_lo, s1
	.loc	1 89 35 is_stmt 1               ; layer_norm_bwd.py:89:35
	v_add_nc_u32_e32 v6, s39, v131
	.loc	1 87 19                         ; layer_norm_bwd.py:87:19
	s_add_co_i32 s0, s81, 0x50
	.loc	1 88 32                         ; layer_norm_bwd.py:88:32
	s_wait_alu depctr_sa_sdst(0)
	s_cmp_lt_i32 s0, s2
	s_cselect_b32 s0, -1, 0
	.loc	1 90 27                         ; layer_norm_bwd.py:90:27
	v_ashrrev_i32_e32 v7, 31, v6
	.loc	1 88 38                         ; layer_norm_bwd.py:88:38
	s_wait_alu depctr_sa_sdst(0)
	s_and_b32 s88, vcc_lo, s0
	s_delay_alu instid0(VALU_DEP_1)
	v_lshlrev_b64_e32 v[82:83], 2, v[6:7]
	.loc	1 90 22                         ; layer_norm_bwd.py:90:22
	s_and_saveexec_b32 s1, s88
	s_cbranch_execz .LBB0_85
; %bb.84:                               ;   in Loop: Header=BB0_3 Depth=1
	.loc	1 90 27 is_stmt 0               ; layer_norm_bwd.py:90:27
	s_wait_kmcnt 0x0
	s_delay_alu instid0(VALU_DEP_1)
	v_add_co_u32 v6, s0, s8, v82
	s_wait_alu depctr_va_sdst(0)
	v_add_co_ci_u32_e64 v7, null, s9, v83, s0
	.loc	1 90 22                         ; layer_norm_bwd.py:90:22
	global_load_b32 v6, v[6:7], off
	s_wait_loadcnt 0x0
	scratch_store_b32 off, v6, off offset:152 ; 4-byte Folded Spill
.LBB0_85:                               ;   in Loop: Header=BB0_3 Depth=1
	.loc	1 0 22                          ; layer_norm_bwd.py:0:22
	s_wait_alu depctr_sa_sdst(0)
	s_or_b32 exec_lo, exec_lo, s1
	.loc	1 89 35 is_stmt 1               ; layer_norm_bwd.py:89:35
	v_add_nc_u32_e32 v6, s38, v131
	.loc	1 87 19                         ; layer_norm_bwd.py:87:19
	s_add_co_i32 s0, s81, 0x52
	v_mov_b32_e32 v8, 0
	.loc	1 88 32                         ; layer_norm_bwd.py:88:32
	s_wait_alu depctr_sa_sdst(0)
	s_cmp_lt_i32 s0, s2
	s_cselect_b32 s0, -1, 0
	.loc	1 90 27                         ; layer_norm_bwd.py:90:27
	v_ashrrev_i32_e32 v7, 31, v6
	.loc	1 88 38                         ; layer_norm_bwd.py:88:38
	s_wait_alu depctr_sa_sdst(0)
	s_and_b32 s89, vcc_lo, s0
	s_delay_alu instid0(VALU_DEP_1)
	v_lshlrev_b64_e32 v[84:85], 2, v[6:7]
	v_mov_b32_e32 v6, 0
	.loc	1 88 32 is_stmt 0               ; layer_norm_bwd.py:88:32
	s_clause 0x1                            ; 8-byte Folded Spill
	scratch_store_b32 off, v8, off offset:160
	scratch_store_b32 off, v6, off offset:164
	.loc	1 90 22 is_stmt 1               ; layer_norm_bwd.py:90:22
	s_and_saveexec_b32 s1, s89
	s_cbranch_execz .LBB0_87
; %bb.86:                               ;   in Loop: Header=BB0_3 Depth=1
	.loc	1 90 27 is_stmt 0               ; layer_norm_bwd.py:90:27
	s_wait_kmcnt 0x0
	v_add_co_u32 v6, s0, s8, v84
	s_wait_alu depctr_va_sdst(0)
	v_add_co_ci_u32_e64 v7, null, s9, v85, s0
	.loc	1 90 22                         ; layer_norm_bwd.py:90:22
	global_load_b32 v6, v[6:7], off
	s_wait_loadcnt 0x0
	scratch_store_b32 off, v6, off offset:164 ; 4-byte Folded Spill
.LBB0_87:                               ;   in Loop: Header=BB0_3 Depth=1
	.loc	1 0 22                          ; layer_norm_bwd.py:0:22
	s_wait_alu depctr_sa_sdst(0)
	s_or_b32 exec_lo, exec_lo, s1
	.loc	1 89 35 is_stmt 1               ; layer_norm_bwd.py:89:35
	v_add_nc_u32_e32 v6, s37, v131
	.loc	1 87 19                         ; layer_norm_bwd.py:87:19
	s_add_co_i32 s0, s81, 0x54
	.loc	1 88 32                         ; layer_norm_bwd.py:88:32
	s_wait_alu depctr_sa_sdst(0)
	s_cmp_lt_i32 s0, s2
	s_cselect_b32 s0, -1, 0
	.loc	1 90 27                         ; layer_norm_bwd.py:90:27
	v_ashrrev_i32_e32 v7, 31, v6
	.loc	1 88 38                         ; layer_norm_bwd.py:88:38
	s_wait_alu depctr_sa_sdst(0)
	s_and_b32 s90, vcc_lo, s0
	s_delay_alu instid0(VALU_DEP_1)
	v_lshlrev_b64_e32 v[86:87], 2, v[6:7]
	.loc	1 90 22                         ; layer_norm_bwd.py:90:22
	s_and_saveexec_b32 s1, s90
	s_cbranch_execz .LBB0_89
; %bb.88:                               ;   in Loop: Header=BB0_3 Depth=1
	.loc	1 90 27 is_stmt 0               ; layer_norm_bwd.py:90:27
	s_wait_kmcnt 0x0
	s_delay_alu instid0(VALU_DEP_1)
	v_add_co_u32 v6, s0, s8, v86
	s_wait_alu depctr_va_sdst(0)
	v_add_co_ci_u32_e64 v7, null, s9, v87, s0
	.loc	1 90 22                         ; layer_norm_bwd.py:90:22
	global_load_b32 v6, v[6:7], off
	s_wait_loadcnt 0x0
	scratch_store_b32 off, v6, off offset:160 ; 4-byte Folded Spill
.LBB0_89:                               ;   in Loop: Header=BB0_3 Depth=1
	.loc	1 0 22                          ; layer_norm_bwd.py:0:22
	s_wait_alu depctr_sa_sdst(0)
	s_or_b32 exec_lo, exec_lo, s1
	.loc	1 89 35 is_stmt 1               ; layer_norm_bwd.py:89:35
	v_add_nc_u32_e32 v6, s36, v131
	.loc	1 87 19                         ; layer_norm_bwd.py:87:19
	s_add_co_i32 s0, s81, 0x56
	v_mov_b32_e32 v8, 0
	.loc	1 88 32                         ; layer_norm_bwd.py:88:32
	s_wait_alu depctr_sa_sdst(0)
	s_cmp_lt_i32 s0, s2
	s_cselect_b32 s0, -1, 0
	.loc	1 90 27                         ; layer_norm_bwd.py:90:27
	v_ashrrev_i32_e32 v7, 31, v6
	.loc	1 88 38                         ; layer_norm_bwd.py:88:38
	s_wait_alu depctr_sa_sdst(0)
	s_and_b32 s91, vcc_lo, s0
	s_delay_alu instid0(VALU_DEP_1)
	v_lshlrev_b64_e32 v[88:89], 2, v[6:7]
	v_mov_b32_e32 v6, 0
	.loc	1 88 32 is_stmt 0               ; layer_norm_bwd.py:88:32
	s_clause 0x1                            ; 8-byte Folded Spill
	scratch_store_b32 off, v8, off offset:168
	scratch_store_b32 off, v6, off offset:172
	.loc	1 90 22 is_stmt 1               ; layer_norm_bwd.py:90:22
	s_and_saveexec_b32 s1, s91
	s_cbranch_execz .LBB0_91
; %bb.90:                               ;   in Loop: Header=BB0_3 Depth=1
	.loc	1 90 27 is_stmt 0               ; layer_norm_bwd.py:90:27
	s_wait_kmcnt 0x0
	v_add_co_u32 v6, s0, s8, v88
	s_wait_alu depctr_va_sdst(0)
	v_add_co_ci_u32_e64 v7, null, s9, v89, s0
	.loc	1 90 22                         ; layer_norm_bwd.py:90:22
	global_load_b32 v6, v[6:7], off
	s_wait_loadcnt 0x0
	scratch_store_b32 off, v6, off offset:172 ; 4-byte Folded Spill
.LBB0_91:                               ;   in Loop: Header=BB0_3 Depth=1
	.loc	1 0 22                          ; layer_norm_bwd.py:0:22
	s_wait_alu depctr_sa_sdst(0)
	s_or_b32 exec_lo, exec_lo, s1
	.loc	1 89 35 is_stmt 1               ; layer_norm_bwd.py:89:35
	v_add_nc_u32_e32 v6, s35, v131
	.loc	1 87 19                         ; layer_norm_bwd.py:87:19
	s_add_co_i32 s0, s81, 0x58
	.loc	1 88 32                         ; layer_norm_bwd.py:88:32
	s_wait_alu depctr_sa_sdst(0)
	s_cmp_lt_i32 s0, s2
	s_cselect_b32 s0, -1, 0
	.loc	1 90 27                         ; layer_norm_bwd.py:90:27
	v_ashrrev_i32_e32 v7, 31, v6
	.loc	1 88 38                         ; layer_norm_bwd.py:88:38
	s_wait_alu depctr_sa_sdst(0)
	s_and_b32 s92, vcc_lo, s0
	s_delay_alu instid0(VALU_DEP_1)
	v_lshlrev_b64_e32 v[90:91], 2, v[6:7]
	.loc	1 90 22                         ; layer_norm_bwd.py:90:22
	s_and_saveexec_b32 s1, s92
	s_cbranch_execz .LBB0_93
; %bb.92:                               ;   in Loop: Header=BB0_3 Depth=1
	.loc	1 90 27 is_stmt 0               ; layer_norm_bwd.py:90:27
	s_wait_kmcnt 0x0
	s_delay_alu instid0(VALU_DEP_1)
	v_add_co_u32 v6, s0, s8, v90
	s_wait_alu depctr_va_sdst(0)
	v_add_co_ci_u32_e64 v7, null, s9, v91, s0
	.loc	1 90 22                         ; layer_norm_bwd.py:90:22
	global_load_b32 v6, v[6:7], off
	s_wait_loadcnt 0x0
	scratch_store_b32 off, v6, off offset:168 ; 4-byte Folded Spill
.LBB0_93:                               ;   in Loop: Header=BB0_3 Depth=1
	.loc	1 0 22                          ; layer_norm_bwd.py:0:22
	s_wait_alu depctr_sa_sdst(0)
	s_or_b32 exec_lo, exec_lo, s1
	.loc	1 89 35 is_stmt 1               ; layer_norm_bwd.py:89:35
	v_add_nc_u32_e32 v6, s34, v131
	.loc	1 87 19                         ; layer_norm_bwd.py:87:19
	s_add_co_i32 s0, s81, 0x5a
	v_mov_b32_e32 v8, 0
	.loc	1 88 32                         ; layer_norm_bwd.py:88:32
	s_wait_alu depctr_sa_sdst(0)
	s_cmp_lt_i32 s0, s2
	s_cselect_b32 s0, -1, 0
	.loc	1 90 27                         ; layer_norm_bwd.py:90:27
	v_ashrrev_i32_e32 v7, 31, v6
	.loc	1 88 38                         ; layer_norm_bwd.py:88:38
	s_wait_alu depctr_sa_sdst(0)
	s_and_b32 s1, vcc_lo, s0
	s_delay_alu instid0(VALU_DEP_1)
	v_lshlrev_b64_e32 v[92:93], 2, v[6:7]
	v_mov_b32_e32 v6, 0
	.loc	1 88 32 is_stmt 0               ; layer_norm_bwd.py:88:32
	s_clause 0x1                            ; 8-byte Folded Spill
	scratch_store_b32 off, v8, off offset:176
	scratch_store_b32 off, v6, off offset:180
	.loc	1 90 22 is_stmt 1               ; layer_norm_bwd.py:90:22
	s_wait_alu depctr_sa_sdst(0)
	s_and_saveexec_b32 s15, s1
	s_cbranch_execz .LBB0_95
; %bb.94:                               ;   in Loop: Header=BB0_3 Depth=1
	.loc	1 90 27 is_stmt 0               ; layer_norm_bwd.py:90:27
	s_wait_kmcnt 0x0
	v_add_co_u32 v6, s0, s8, v92
	s_wait_alu depctr_va_sdst(0)
	v_add_co_ci_u32_e64 v7, null, s9, v93, s0
	.loc	1 90 22                         ; layer_norm_bwd.py:90:22
	global_load_b32 v6, v[6:7], off
	s_wait_loadcnt 0x0
	scratch_store_b32 off, v6, off offset:180 ; 4-byte Folded Spill
.LBB0_95:                               ;   in Loop: Header=BB0_3 Depth=1
	.loc	1 0 22                          ; layer_norm_bwd.py:0:22
	s_or_b32 exec_lo, exec_lo, s15
	.loc	1 89 35 is_stmt 1               ; layer_norm_bwd.py:89:35
	v_add_nc_u32_e32 v6, s33, v131
	.loc	1 87 19                         ; layer_norm_bwd.py:87:19
	s_add_co_i32 s0, s81, 0x5c
	.loc	1 88 32                         ; layer_norm_bwd.py:88:32
	s_wait_alu depctr_sa_sdst(0)
	s_cmp_lt_i32 s0, s2
	s_cselect_b32 s0, -1, 0
	.loc	1 90 27                         ; layer_norm_bwd.py:90:27
	v_ashrrev_i32_e32 v7, 31, v6
	.loc	1 88 38                         ; layer_norm_bwd.py:88:38
	s_wait_alu depctr_sa_sdst(0)
	s_and_b32 s15, vcc_lo, s0
	s_delay_alu instid0(VALU_DEP_1)
	v_lshlrev_b64_e32 v[94:95], 2, v[6:7]
	.loc	1 90 22                         ; layer_norm_bwd.py:90:22
	s_and_saveexec_b32 s16, s15
	s_cbranch_execz .LBB0_97
; %bb.96:                               ;   in Loop: Header=BB0_3 Depth=1
	.loc	1 90 27 is_stmt 0               ; layer_norm_bwd.py:90:27
	s_wait_kmcnt 0x0
	s_delay_alu instid0(VALU_DEP_1)
	v_add_co_u32 v6, s0, s8, v94
	s_wait_alu depctr_va_sdst(0)
	v_add_co_ci_u32_e64 v7, null, s9, v95, s0
	.loc	1 90 22                         ; layer_norm_bwd.py:90:22
	global_load_b32 v6, v[6:7], off
	s_wait_loadcnt 0x0
	scratch_store_b32 off, v6, off offset:176 ; 4-byte Folded Spill
.LBB0_97:                               ;   in Loop: Header=BB0_3 Depth=1
	.loc	1 0 22                          ; layer_norm_bwd.py:0:22
	s_or_b32 exec_lo, exec_lo, s16
	.loc	1 89 35 is_stmt 1               ; layer_norm_bwd.py:89:35
	v_add_nc_u32_e32 v6, s31, v131
	.loc	1 87 19                         ; layer_norm_bwd.py:87:19
	s_add_co_i32 s0, s81, 0x5e
	v_mov_b32_e32 v8, 0
	.loc	1 88 32                         ; layer_norm_bwd.py:88:32
	s_wait_alu depctr_sa_sdst(0)
	s_cmp_lt_i32 s0, s2
	s_cselect_b32 s0, -1, 0
	.loc	1 90 27                         ; layer_norm_bwd.py:90:27
	v_ashrrev_i32_e32 v7, 31, v6
	.loc	1 88 38                         ; layer_norm_bwd.py:88:38
	s_wait_alu depctr_sa_sdst(0)
	s_and_b32 s16, vcc_lo, s0
	s_delay_alu instid0(VALU_DEP_1)
	v_lshlrev_b64_e32 v[96:97], 2, v[6:7]
	v_mov_b32_e32 v6, 0
	.loc	1 88 32 is_stmt 0               ; layer_norm_bwd.py:88:32
	s_clause 0x1                            ; 8-byte Folded Spill
	scratch_store_b32 off, v8, off offset:184
	scratch_store_b32 off, v6, off offset:188
	.loc	1 90 22 is_stmt 1               ; layer_norm_bwd.py:90:22
	s_and_saveexec_b32 s17, s16
	s_cbranch_execz .LBB0_99
; %bb.98:                               ;   in Loop: Header=BB0_3 Depth=1
	.loc	1 90 27 is_stmt 0               ; layer_norm_bwd.py:90:27
	s_wait_kmcnt 0x0
	v_add_co_u32 v6, s0, s8, v96
	s_wait_alu depctr_va_sdst(0)
	v_add_co_ci_u32_e64 v7, null, s9, v97, s0
	.loc	1 90 22                         ; layer_norm_bwd.py:90:22
	global_load_b32 v6, v[6:7], off
	s_wait_loadcnt 0x0
	scratch_store_b32 off, v6, off offset:188 ; 4-byte Folded Spill
.LBB0_99:                               ;   in Loop: Header=BB0_3 Depth=1
	.loc	1 0 22                          ; layer_norm_bwd.py:0:22
	s_or_b32 exec_lo, exec_lo, s17
	.loc	1 89 35 is_stmt 1               ; layer_norm_bwd.py:89:35
	v_readlane_b32 s0, v254, 20
	s_wait_alu depctr_va_sdst(0)
	s_delay_alu instid0(VALU_DEP_1)
	v_add_nc_u32_e32 v6, s0, v131
	.loc	1 87 19                         ; layer_norm_bwd.py:87:19
	s_add_co_i32 s0, s81, 0x60
	.loc	1 88 32                         ; layer_norm_bwd.py:88:32
	s_wait_alu depctr_sa_sdst(0)
	s_cmp_lt_i32 s0, s2
	s_cselect_b32 s0, -1, 0
	.loc	1 90 27                         ; layer_norm_bwd.py:90:27
	v_ashrrev_i32_e32 v7, 31, v6
	.loc	1 88 38                         ; layer_norm_bwd.py:88:38
	s_wait_alu depctr_sa_sdst(0)
	s_and_b32 s17, vcc_lo, s0
	s_delay_alu instid0(VALU_DEP_1)
	v_lshlrev_b64_e32 v[98:99], 2, v[6:7]
	.loc	1 90 22                         ; layer_norm_bwd.py:90:22
	s_and_saveexec_b32 s18, s17
	s_cbranch_execz .LBB0_101
; %bb.100:                              ;   in Loop: Header=BB0_3 Depth=1
	.loc	1 90 27 is_stmt 0               ; layer_norm_bwd.py:90:27
	s_wait_kmcnt 0x0
	s_delay_alu instid0(VALU_DEP_1)
	v_add_co_u32 v6, s0, s8, v98
	s_wait_alu depctr_va_sdst(0)
	v_add_co_ci_u32_e64 v7, null, s9, v99, s0
	.loc	1 90 22                         ; layer_norm_bwd.py:90:22
	global_load_b32 v6, v[6:7], off
	s_wait_loadcnt 0x0
	scratch_store_b32 off, v6, off offset:184 ; 4-byte Folded Spill
.LBB0_101:                              ;   in Loop: Header=BB0_3 Depth=1
	.loc	1 0 22                          ; layer_norm_bwd.py:0:22
	s_or_b32 exec_lo, exec_lo, s18
	.loc	1 89 35 is_stmt 1               ; layer_norm_bwd.py:89:35
	v_readlane_b32 s0, v254, 19
	v_mov_b32_e32 v8, 0
	v_mov_b32_e32 v134, 0
	s_wait_alu depctr_va_sdst(0)
	s_delay_alu instid0(VALU_DEP_3)
	v_add_nc_u32_e32 v6, s0, v131
	.loc	1 87 19                         ; layer_norm_bwd.py:87:19
	s_add_co_i32 s0, s81, 0x62
	scratch_store_b32 off, v8, off offset:192 ; 4-byte Folded Spill
	.loc	1 88 32                         ; layer_norm_bwd.py:88:32
	s_wait_alu depctr_sa_sdst(0)
	s_cmp_lt_i32 s0, s2
	s_cselect_b32 s0, -1, 0
	.loc	1 90 27                         ; layer_norm_bwd.py:90:27
	v_ashrrev_i32_e32 v7, 31, v6
	.loc	1 88 38                         ; layer_norm_bwd.py:88:38
	s_wait_alu depctr_sa_sdst(0)
	s_and_b32 s18, vcc_lo, s0
	s_delay_alu instid0(VALU_DEP_1)
	v_lshlrev_b64_e32 v[100:101], 2, v[6:7]
	.loc	1 90 22                         ; layer_norm_bwd.py:90:22
	s_and_saveexec_b32 s19, s18
	s_cbranch_execz .LBB0_103
; %bb.102:                              ;   in Loop: Header=BB0_3 Depth=1
	.loc	1 90 27 is_stmt 0               ; layer_norm_bwd.py:90:27
	s_wait_kmcnt 0x0
	s_delay_alu instid0(VALU_DEP_1)
	v_add_co_u32 v6, s0, s8, v100
	s_wait_alu depctr_va_sdst(0)
	v_add_co_ci_u32_e64 v7, null, s9, v101, s0
	.loc	1 90 22                         ; layer_norm_bwd.py:90:22
	global_load_b32 v134, v[6:7], off
.LBB0_103:                              ;   in Loop: Header=BB0_3 Depth=1
	.loc	1 0 22                          ; layer_norm_bwd.py:0:22
	s_or_b32 exec_lo, exec_lo, s19
	.loc	1 89 35 is_stmt 1               ; layer_norm_bwd.py:89:35
	v_readlane_b32 s0, v254, 18
	s_wait_alu depctr_va_sdst(0)
	s_delay_alu instid0(VALU_DEP_1)
	v_add_nc_u32_e32 v6, s0, v131
	.loc	1 87 19                         ; layer_norm_bwd.py:87:19
	s_add_co_i32 s0, s81, 0x64
	.loc	1 88 32                         ; layer_norm_bwd.py:88:32
	s_wait_alu depctr_sa_sdst(0)
	s_cmp_lt_i32 s0, s2
	s_cselect_b32 s0, -1, 0
	.loc	1 90 27                         ; layer_norm_bwd.py:90:27
	v_ashrrev_i32_e32 v7, 31, v6
	.loc	1 88 38                         ; layer_norm_bwd.py:88:38
	s_wait_alu depctr_sa_sdst(0)
	s_and_b32 s19, vcc_lo, s0
	s_delay_alu instid0(VALU_DEP_1)
	v_lshlrev_b64_e32 v[102:103], 2, v[6:7]
	.loc	1 90 22                         ; layer_norm_bwd.py:90:22
	s_and_saveexec_b32 s20, s19
	s_cbranch_execz .LBB0_105
; %bb.104:                              ;   in Loop: Header=BB0_3 Depth=1
	.loc	1 90 27 is_stmt 0               ; layer_norm_bwd.py:90:27
	s_wait_kmcnt 0x0
	s_delay_alu instid0(VALU_DEP_1)
	v_add_co_u32 v6, s0, s8, v102
	s_wait_alu depctr_va_sdst(0)
	v_add_co_ci_u32_e64 v7, null, s9, v103, s0
	.loc	1 90 22                         ; layer_norm_bwd.py:90:22
	global_load_b32 v6, v[6:7], off
	s_wait_loadcnt 0x0
	scratch_store_b32 off, v6, off offset:192 ; 4-byte Folded Spill
.LBB0_105:                              ;   in Loop: Header=BB0_3 Depth=1
	.loc	1 0 22                          ; layer_norm_bwd.py:0:22
	s_or_b32 exec_lo, exec_lo, s20
	.loc	1 89 35 is_stmt 1               ; layer_norm_bwd.py:89:35
	v_readlane_b32 s0, v254, 17
	v_dual_mov_b32 v136, 0 :: v_dual_mov_b32 v135, 0
	s_wait_alu depctr_va_sdst(0)
	s_delay_alu instid0(VALU_DEP_2)
	v_add_nc_u32_e32 v6, s0, v131
	.loc	1 87 19                         ; layer_norm_bwd.py:87:19
	s_add_co_i32 s0, s81, 0x66
	.loc	1 88 32                         ; layer_norm_bwd.py:88:32
	s_wait_alu depctr_sa_sdst(0)
	s_cmp_lt_i32 s0, s2
	s_cselect_b32 s0, -1, 0
	.loc	1 90 27                         ; layer_norm_bwd.py:90:27
	v_ashrrev_i32_e32 v7, 31, v6
	.loc	1 88 38                         ; layer_norm_bwd.py:88:38
	s_wait_alu depctr_sa_sdst(0)
	s_and_b32 s93, vcc_lo, s0
	s_delay_alu instid0(VALU_DEP_1)
	v_lshlrev_b64_e32 v[104:105], 2, v[6:7]
	.loc	1 90 22                         ; layer_norm_bwd.py:90:22
	s_and_saveexec_b32 s20, s93
	s_cbranch_execz .LBB0_107
; %bb.106:                              ;   in Loop: Header=BB0_3 Depth=1
	.loc	1 90 27 is_stmt 0               ; layer_norm_bwd.py:90:27
	s_wait_kmcnt 0x0
	s_delay_alu instid0(VALU_DEP_1)
	v_add_co_u32 v6, s0, s8, v104
	s_wait_alu depctr_va_sdst(0)
	v_add_co_ci_u32_e64 v7, null, s9, v105, s0
	.loc	1 90 22                         ; layer_norm_bwd.py:90:22
	global_load_b32 v136, v[6:7], off
.LBB0_107:                              ;   in Loop: Header=BB0_3 Depth=1
	.loc	1 0 22                          ; layer_norm_bwd.py:0:22
	s_or_b32 exec_lo, exec_lo, s20
	.loc	1 89 35 is_stmt 1               ; layer_norm_bwd.py:89:35
	v_readlane_b32 s0, v254, 16
	s_wait_alu depctr_va_sdst(0)
	s_delay_alu instid0(VALU_DEP_1)
	v_add_nc_u32_e32 v6, s0, v131
	.loc	1 87 19                         ; layer_norm_bwd.py:87:19
	s_add_co_i32 s0, s81, 0x68
	.loc	1 88 32                         ; layer_norm_bwd.py:88:32
	s_wait_alu depctr_sa_sdst(0)
	s_cmp_lt_i32 s0, s2
	s_cselect_b32 s0, -1, 0
	.loc	1 90 27                         ; layer_norm_bwd.py:90:27
	v_ashrrev_i32_e32 v7, 31, v6
	.loc	1 88 38                         ; layer_norm_bwd.py:88:38
	s_wait_alu depctr_sa_sdst(0)
	s_and_b32 s20, vcc_lo, s0
	s_delay_alu instid0(VALU_DEP_1)
	v_lshlrev_b64_e32 v[106:107], 2, v[6:7]
	.loc	1 90 22                         ; layer_norm_bwd.py:90:22
	s_and_saveexec_b32 s21, s20
	s_cbranch_execz .LBB0_109
; %bb.108:                              ;   in Loop: Header=BB0_3 Depth=1
	.loc	1 90 27 is_stmt 0               ; layer_norm_bwd.py:90:27
	s_wait_kmcnt 0x0
	s_delay_alu instid0(VALU_DEP_1)
	v_add_co_u32 v6, s0, s8, v106
	s_wait_alu depctr_va_sdst(0)
	v_add_co_ci_u32_e64 v7, null, s9, v107, s0
	.loc	1 90 22                         ; layer_norm_bwd.py:90:22
	global_load_b32 v135, v[6:7], off
.LBB0_109:                              ;   in Loop: Header=BB0_3 Depth=1
	.loc	1 0 22                          ; layer_norm_bwd.py:0:22
	s_or_b32 exec_lo, exec_lo, s21
	.loc	1 89 35 is_stmt 1               ; layer_norm_bwd.py:89:35
	v_readlane_b32 s0, v254, 15
	v_dual_mov_b32 v138, 0 :: v_dual_mov_b32 v137, 0
	s_wait_alu depctr_va_sdst(0)
	s_delay_alu instid0(VALU_DEP_2)
	v_add_nc_u32_e32 v6, s0, v131
	.loc	1 87 19                         ; layer_norm_bwd.py:87:19
	s_add_co_i32 s0, s81, 0x6a
	.loc	1 88 32                         ; layer_norm_bwd.py:88:32
	s_wait_alu depctr_sa_sdst(0)
	s_cmp_lt_i32 s0, s2
	s_cselect_b32 s0, -1, 0
	.loc	1 90 27                         ; layer_norm_bwd.py:90:27
	v_ashrrev_i32_e32 v7, 31, v6
	.loc	1 88 38                         ; layer_norm_bwd.py:88:38
	s_wait_alu depctr_sa_sdst(0)
	s_and_b32 s21, vcc_lo, s0
	s_delay_alu instid0(VALU_DEP_1)
	v_lshlrev_b64_e32 v[108:109], 2, v[6:7]
	.loc	1 90 22                         ; layer_norm_bwd.py:90:22
	s_and_saveexec_b32 s22, s21
	s_cbranch_execz .LBB0_111
; %bb.110:                              ;   in Loop: Header=BB0_3 Depth=1
	.loc	1 90 27 is_stmt 0               ; layer_norm_bwd.py:90:27
	s_wait_kmcnt 0x0
	s_delay_alu instid0(VALU_DEP_1)
	v_add_co_u32 v6, s0, s8, v108
	s_wait_alu depctr_va_sdst(0)
	v_add_co_ci_u32_e64 v7, null, s9, v109, s0
	.loc	1 90 22                         ; layer_norm_bwd.py:90:22
	global_load_b32 v138, v[6:7], off
.LBB0_111:                              ;   in Loop: Header=BB0_3 Depth=1
	.loc	1 0 22                          ; layer_norm_bwd.py:0:22
	s_or_b32 exec_lo, exec_lo, s22
	.loc	1 89 35 is_stmt 1               ; layer_norm_bwd.py:89:35
	v_readlane_b32 s0, v254, 14
	s_wait_alu depctr_va_sdst(0)
	s_delay_alu instid0(VALU_DEP_1)
	v_add_nc_u32_e32 v6, s0, v131
	.loc	1 87 19                         ; layer_norm_bwd.py:87:19
	s_add_co_i32 s0, s81, 0x6c
	.loc	1 88 32                         ; layer_norm_bwd.py:88:32
	s_wait_alu depctr_sa_sdst(0)
	s_cmp_lt_i32 s0, s2
	s_cselect_b32 s0, -1, 0
	.loc	1 90 27                         ; layer_norm_bwd.py:90:27
	v_ashrrev_i32_e32 v7, 31, v6
	.loc	1 88 38                         ; layer_norm_bwd.py:88:38
	s_wait_alu depctr_sa_sdst(0)
	s_and_b32 s22, vcc_lo, s0
	s_delay_alu instid0(VALU_DEP_1)
	v_lshlrev_b64_e32 v[110:111], 2, v[6:7]
	.loc	1 90 22                         ; layer_norm_bwd.py:90:22
	s_and_saveexec_b32 s23, s22
	s_cbranch_execz .LBB0_113
; %bb.112:                              ;   in Loop: Header=BB0_3 Depth=1
	.loc	1 90 27 is_stmt 0               ; layer_norm_bwd.py:90:27
	s_wait_kmcnt 0x0
	s_delay_alu instid0(VALU_DEP_1)
	v_add_co_u32 v6, s0, s8, v110
	s_wait_alu depctr_va_sdst(0)
	v_add_co_ci_u32_e64 v7, null, s9, v111, s0
	.loc	1 90 22                         ; layer_norm_bwd.py:90:22
	global_load_b32 v137, v[6:7], off
.LBB0_113:                              ;   in Loop: Header=BB0_3 Depth=1
	.loc	1 0 22                          ; layer_norm_bwd.py:0:22
	s_or_b32 exec_lo, exec_lo, s23
	.loc	1 89 35 is_stmt 1               ; layer_norm_bwd.py:89:35
	v_readlane_b32 s0, v254, 13
	v_dual_mov_b32 v140, 0 :: v_dual_mov_b32 v139, 0
	s_wait_alu depctr_va_sdst(0)
	s_delay_alu instid0(VALU_DEP_2)
	v_add_nc_u32_e32 v6, s0, v131
	.loc	1 87 19                         ; layer_norm_bwd.py:87:19
	s_add_co_i32 s0, s81, 0x6e
	.loc	1 88 32                         ; layer_norm_bwd.py:88:32
	s_wait_alu depctr_sa_sdst(0)
	s_cmp_lt_i32 s0, s2
	s_cselect_b32 s0, -1, 0
	.loc	1 90 27                         ; layer_norm_bwd.py:90:27
	v_ashrrev_i32_e32 v7, 31, v6
	.loc	1 88 38                         ; layer_norm_bwd.py:88:38
	s_wait_alu depctr_sa_sdst(0)
	s_and_b32 s23, vcc_lo, s0
	s_delay_alu instid0(VALU_DEP_1)
	v_lshlrev_b64_e32 v[112:113], 2, v[6:7]
	.loc	1 90 22                         ; layer_norm_bwd.py:90:22
	s_and_saveexec_b32 s24, s23
	s_cbranch_execz .LBB0_115
; %bb.114:                              ;   in Loop: Header=BB0_3 Depth=1
	.loc	1 90 27 is_stmt 0               ; layer_norm_bwd.py:90:27
	s_wait_kmcnt 0x0
	s_delay_alu instid0(VALU_DEP_1)
	v_add_co_u32 v6, s0, s8, v112
	s_wait_alu depctr_va_sdst(0)
	v_add_co_ci_u32_e64 v7, null, s9, v113, s0
	.loc	1 90 22                         ; layer_norm_bwd.py:90:22
	global_load_b32 v140, v[6:7], off
.LBB0_115:                              ;   in Loop: Header=BB0_3 Depth=1
	.loc	1 0 22                          ; layer_norm_bwd.py:0:22
	s_or_b32 exec_lo, exec_lo, s24
	.loc	1 89 35 is_stmt 1               ; layer_norm_bwd.py:89:35
	v_readlane_b32 s0, v254, 12
	s_wait_alu depctr_va_sdst(0)
	s_delay_alu instid0(VALU_DEP_1)
	v_add_nc_u32_e32 v6, s0, v131
	.loc	1 87 19                         ; layer_norm_bwd.py:87:19
	s_add_co_i32 s0, s81, 0x70
	.loc	1 88 32                         ; layer_norm_bwd.py:88:32
	s_wait_alu depctr_sa_sdst(0)
	s_cmp_lt_i32 s0, s2
	s_cselect_b32 s0, -1, 0
	.loc	1 90 27                         ; layer_norm_bwd.py:90:27
	v_ashrrev_i32_e32 v7, 31, v6
	.loc	1 88 38                         ; layer_norm_bwd.py:88:38
	s_wait_alu depctr_sa_sdst(0)
	s_and_b32 s24, vcc_lo, s0
	s_delay_alu instid0(VALU_DEP_1)
	v_lshlrev_b64_e32 v[114:115], 2, v[6:7]
	.loc	1 90 22                         ; layer_norm_bwd.py:90:22
	s_and_saveexec_b32 s25, s24
	s_cbranch_execz .LBB0_117
; %bb.116:                              ;   in Loop: Header=BB0_3 Depth=1
	.loc	1 90 27 is_stmt 0               ; layer_norm_bwd.py:90:27
	s_wait_kmcnt 0x0
	s_delay_alu instid0(VALU_DEP_1)
	v_add_co_u32 v6, s0, s8, v114
	s_wait_alu depctr_va_sdst(0)
	v_add_co_ci_u32_e64 v7, null, s9, v115, s0
	.loc	1 90 22                         ; layer_norm_bwd.py:90:22
	global_load_b32 v139, v[6:7], off
.LBB0_117:                              ;   in Loop: Header=BB0_3 Depth=1
	.loc	1 0 22                          ; layer_norm_bwd.py:0:22
	s_or_b32 exec_lo, exec_lo, s25
	.loc	1 89 35 is_stmt 1               ; layer_norm_bwd.py:89:35
	v_readlane_b32 s0, v254, 11
	v_dual_mov_b32 v142, 0 :: v_dual_mov_b32 v141, 0
	s_wait_alu depctr_va_sdst(0)
	s_delay_alu instid0(VALU_DEP_2)
	v_add_nc_u32_e32 v6, s0, v131
	.loc	1 87 19                         ; layer_norm_bwd.py:87:19
	s_add_co_i32 s0, s81, 0x72
	.loc	1 88 32                         ; layer_norm_bwd.py:88:32
	s_wait_alu depctr_sa_sdst(0)
	s_cmp_lt_i32 s0, s2
	s_cselect_b32 s0, -1, 0
	.loc	1 90 27                         ; layer_norm_bwd.py:90:27
	v_ashrrev_i32_e32 v7, 31, v6
	.loc	1 88 38                         ; layer_norm_bwd.py:88:38
	s_wait_alu depctr_sa_sdst(0)
	s_and_b32 s25, vcc_lo, s0
	s_delay_alu instid0(VALU_DEP_1)
	v_lshlrev_b64_e32 v[116:117], 2, v[6:7]
	.loc	1 90 22                         ; layer_norm_bwd.py:90:22
	s_and_saveexec_b32 s26, s25
	s_cbranch_execz .LBB0_119
; %bb.118:                              ;   in Loop: Header=BB0_3 Depth=1
	.loc	1 90 27 is_stmt 0               ; layer_norm_bwd.py:90:27
	s_wait_kmcnt 0x0
	s_delay_alu instid0(VALU_DEP_1)
	v_add_co_u32 v6, s0, s8, v116
	s_wait_alu depctr_va_sdst(0)
	v_add_co_ci_u32_e64 v7, null, s9, v117, s0
	.loc	1 90 22                         ; layer_norm_bwd.py:90:22
	global_load_b32 v142, v[6:7], off
.LBB0_119:                              ;   in Loop: Header=BB0_3 Depth=1
	.loc	1 0 22                          ; layer_norm_bwd.py:0:22
	s_or_b32 exec_lo, exec_lo, s26
	.loc	1 89 35 is_stmt 1               ; layer_norm_bwd.py:89:35
	v_readlane_b32 s0, v254, 10
	s_wait_alu depctr_va_sdst(0)
	s_delay_alu instid0(VALU_DEP_1)
	v_add_nc_u32_e32 v6, s0, v131
	.loc	1 87 19                         ; layer_norm_bwd.py:87:19
	s_add_co_i32 s0, s81, 0x74
	.loc	1 88 32                         ; layer_norm_bwd.py:88:32
	s_wait_alu depctr_sa_sdst(0)
	s_cmp_lt_i32 s0, s2
	s_cselect_b32 s0, -1, 0
	.loc	1 90 27                         ; layer_norm_bwd.py:90:27
	v_ashrrev_i32_e32 v7, 31, v6
	.loc	1 88 38                         ; layer_norm_bwd.py:88:38
	s_wait_alu depctr_sa_sdst(0)
	s_and_b32 s94, vcc_lo, s0
	s_delay_alu instid0(VALU_DEP_1)
	v_lshlrev_b64_e32 v[118:119], 2, v[6:7]
	.loc	1 90 22                         ; layer_norm_bwd.py:90:22
	s_and_saveexec_b32 s26, s94
	s_cbranch_execz .LBB0_121
; %bb.120:                              ;   in Loop: Header=BB0_3 Depth=1
	.loc	1 90 27 is_stmt 0               ; layer_norm_bwd.py:90:27
	s_wait_kmcnt 0x0
	s_delay_alu instid0(VALU_DEP_1)
	v_add_co_u32 v6, s0, s8, v118
	s_wait_alu depctr_va_sdst(0)
	v_add_co_ci_u32_e64 v7, null, s9, v119, s0
	.loc	1 90 22                         ; layer_norm_bwd.py:90:22
	global_load_b32 v141, v[6:7], off
.LBB0_121:                              ;   in Loop: Header=BB0_3 Depth=1
	.loc	1 0 22                          ; layer_norm_bwd.py:0:22
	s_or_b32 exec_lo, exec_lo, s26
	.loc	1 89 35 is_stmt 1               ; layer_norm_bwd.py:89:35
	v_readlane_b32 s0, v254, 9
	v_dual_mov_b32 v144, 0 :: v_dual_mov_b32 v143, 0
	s_wait_alu depctr_va_sdst(0)
	s_delay_alu instid0(VALU_DEP_2)
	v_add_nc_u32_e32 v6, s0, v131
	.loc	1 87 19                         ; layer_norm_bwd.py:87:19
	s_add_co_i32 s0, s81, 0x76
	.loc	1 88 32                         ; layer_norm_bwd.py:88:32
	s_wait_alu depctr_sa_sdst(0)
	s_cmp_lt_i32 s0, s2
	s_cselect_b32 s0, -1, 0
	.loc	1 90 27                         ; layer_norm_bwd.py:90:27
	v_ashrrev_i32_e32 v7, 31, v6
	.loc	1 88 38                         ; layer_norm_bwd.py:88:38
	s_wait_alu depctr_sa_sdst(0)
	s_and_b32 s26, vcc_lo, s0
	s_delay_alu instid0(VALU_DEP_1)
	v_lshlrev_b64_e32 v[120:121], 2, v[6:7]
	.loc	1 90 22                         ; layer_norm_bwd.py:90:22
	s_and_saveexec_b32 s27, s26
	s_cbranch_execz .LBB0_123
; %bb.122:                              ;   in Loop: Header=BB0_3 Depth=1
	.loc	1 90 27 is_stmt 0               ; layer_norm_bwd.py:90:27
	s_wait_kmcnt 0x0
	s_delay_alu instid0(VALU_DEP_1)
	v_add_co_u32 v6, s0, s8, v120
	s_wait_alu depctr_va_sdst(0)
	v_add_co_ci_u32_e64 v7, null, s9, v121, s0
	.loc	1 90 22                         ; layer_norm_bwd.py:90:22
	global_load_b32 v144, v[6:7], off
.LBB0_123:                              ;   in Loop: Header=BB0_3 Depth=1
	.loc	1 0 22                          ; layer_norm_bwd.py:0:22
	s_or_b32 exec_lo, exec_lo, s27
	.loc	1 89 35 is_stmt 1               ; layer_norm_bwd.py:89:35
	v_readlane_b32 s0, v254, 8
	s_wait_alu depctr_va_sdst(0)
	s_delay_alu instid0(VALU_DEP_1)
	v_add_nc_u32_e32 v6, s0, v131
	.loc	1 87 19                         ; layer_norm_bwd.py:87:19
	s_add_co_i32 s0, s81, 0x78
	.loc	1 88 32                         ; layer_norm_bwd.py:88:32
	s_wait_alu depctr_sa_sdst(0)
	s_cmp_lt_i32 s0, s2
	s_cselect_b32 s0, -1, 0
	.loc	1 90 27                         ; layer_norm_bwd.py:90:27
	v_ashrrev_i32_e32 v7, 31, v6
	.loc	1 88 38                         ; layer_norm_bwd.py:88:38
	s_wait_alu depctr_sa_sdst(0)
	s_and_b32 s27, vcc_lo, s0
	s_delay_alu instid0(VALU_DEP_1)
	v_lshlrev_b64_e32 v[122:123], 2, v[6:7]
	.loc	1 90 22                         ; layer_norm_bwd.py:90:22
	s_and_saveexec_b32 s28, s27
	s_cbranch_execz .LBB0_125
; %bb.124:                              ;   in Loop: Header=BB0_3 Depth=1
	.loc	1 90 27 is_stmt 0               ; layer_norm_bwd.py:90:27
	s_wait_kmcnt 0x0
	s_delay_alu instid0(VALU_DEP_1)
	v_add_co_u32 v6, s0, s8, v122
	s_wait_alu depctr_va_sdst(0)
	v_add_co_ci_u32_e64 v7, null, s9, v123, s0
	.loc	1 90 22                         ; layer_norm_bwd.py:90:22
	global_load_b32 v143, v[6:7], off
.LBB0_125:                              ;   in Loop: Header=BB0_3 Depth=1
	.loc	1 0 22                          ; layer_norm_bwd.py:0:22
	s_or_b32 exec_lo, exec_lo, s28
	.loc	1 89 35 is_stmt 1               ; layer_norm_bwd.py:89:35
	v_readlane_b32 s0, v254, 7
	s_wait_alu depctr_va_sdst(0)
	s_delay_alu instid0(VALU_DEP_1)
	v_dual_mov_b32 v145, 0 :: v_dual_add_nc_u32 v6, s0, v131
	.loc	1 87 19                         ; layer_norm_bwd.py:87:19
	s_add_co_i32 s0, s81, 0x7a
	.loc	1 88 32                         ; layer_norm_bwd.py:88:32
	s_wait_alu depctr_sa_sdst(0)
	s_cmp_lt_i32 s0, s2
	s_cselect_b32 s0, -1, 0
	.loc	1 90 27                         ; layer_norm_bwd.py:90:27
	v_ashrrev_i32_e32 v7, 31, v6
	.loc	1 88 38                         ; layer_norm_bwd.py:88:38
	s_wait_alu depctr_sa_sdst(0)
	s_and_b32 s28, vcc_lo, s0
	s_delay_alu instid0(VALU_DEP_1)
	v_lshlrev_b64_e32 v[124:125], 2, v[6:7]
	v_mov_b32_e32 v6, 0
	.loc	1 90 22                         ; layer_norm_bwd.py:90:22
	s_and_saveexec_b32 s29, s28
	s_cbranch_execz .LBB0_127
; %bb.126:                              ;   in Loop: Header=BB0_3 Depth=1
	.loc	1 90 27 is_stmt 0               ; layer_norm_bwd.py:90:27
	s_wait_kmcnt 0x0
	s_delay_alu instid0(VALU_DEP_2)
	v_add_co_u32 v6, s0, s8, v124
	s_wait_alu depctr_va_sdst(0)
	v_add_co_ci_u32_e64 v7, null, s9, v125, s0
	.loc	1 90 22                         ; layer_norm_bwd.py:90:22
	global_load_b32 v6, v[6:7], off
.LBB0_127:                              ;   in Loop: Header=BB0_3 Depth=1
	.loc	1 0 22                          ; layer_norm_bwd.py:0:22
	s_or_b32 exec_lo, exec_lo, s29
	.loc	1 89 35 is_stmt 1               ; layer_norm_bwd.py:89:35
	v_readlane_b32 s0, v254, 6
	s_wait_alu depctr_va_sdst(0)
	s_delay_alu instid0(VALU_DEP_1)
	v_add_nc_u32_e32 v126, s0, v131
	.loc	1 87 19                         ; layer_norm_bwd.py:87:19
	s_add_co_i32 s0, s81, 0x7c
	.loc	1 88 32                         ; layer_norm_bwd.py:88:32
	s_wait_alu depctr_sa_sdst(0)
	s_cmp_lt_i32 s0, s2
	s_cselect_b32 s0, -1, 0
	.loc	1 90 27                         ; layer_norm_bwd.py:90:27
	v_ashrrev_i32_e32 v127, 31, v126
	.loc	1 88 38                         ; layer_norm_bwd.py:88:38
	s_wait_alu depctr_sa_sdst(0)
	s_and_b32 s29, vcc_lo, s0
	s_delay_alu instid0(VALU_DEP_1)
	v_lshlrev_b64_e32 v[126:127], 2, v[126:127]
	.loc	1 90 22                         ; layer_norm_bwd.py:90:22
	s_and_saveexec_b32 s30, s29
	s_cbranch_execz .LBB0_129
; %bb.128:                              ;   in Loop: Header=BB0_3 Depth=1
	.loc	1 90 27 is_stmt 0               ; layer_norm_bwd.py:90:27
	s_wait_kmcnt 0x0
	s_delay_alu instid0(VALU_DEP_1)
	v_add_co_u32 v128, s0, s8, v126
	s_wait_alu depctr_va_sdst(0)
	v_add_co_ci_u32_e64 v129, null, s9, v127, s0
	.loc	1 90 22                         ; layer_norm_bwd.py:90:22
	global_load_b32 v145, v[128:129], off
.LBB0_129:                              ;   in Loop: Header=BB0_3 Depth=1
	.loc	1 0 22                          ; layer_norm_bwd.py:0:22
	s_wait_alu depctr_sa_sdst(0)
	s_or_b32 exec_lo, exec_lo, s30
	.loc	1 90 27                         ; layer_norm_bwd.py:90:27
	v_readlane_b32 s0, v254, 5
	.loc	1 88 32 is_stmt 1               ; layer_norm_bwd.py:88:32
	s_addk_co_i32 s81, 0x7e
	v_mov_b32_e32 v146, 0
	s_cmp_lt_i32 s81, s2
	v_dual_mov_b32 v7, 0 :: v_dual_add_nc_u32 v128, s0, v131
	s_cselect_b32 s0, -1, 0
	.loc	1 88 38 is_stmt 0               ; layer_norm_bwd.py:88:38
	s_wait_alu depctr_sa_sdst(0)
	s_and_b32 s81, vcc_lo, s0
	s_delay_alu instid0(VALU_DEP_1) | instskip(NEXT) | instid1(VALU_DEP_1)
	.loc	1 90 27 is_stmt 1               ; layer_norm_bwd.py:90:27
	v_ashrrev_i32_e32 v129, 31, v128
	v_lshlrev_b64_e32 v[128:129], 2, v[128:129]
	.loc	1 90 22 is_stmt 0               ; layer_norm_bwd.py:90:22
	s_and_saveexec_b32 s30, s81
	s_cbranch_execz .LBB0_131
; %bb.130:                              ;   in Loop: Header=BB0_3 Depth=1
	.loc	1 0 22                          ; layer_norm_bwd.py:0:22
	v_dual_mov_b32 v8, v171 :: v_dual_mov_b32 v171, v133
	v_mov_b32_e32 v133, v169
	v_mov_b32_e32 v169, v167
	;; [unrolled: 1-line block ×3, first 2 shown]
	s_wait_loadcnt 0x0
	v_dual_mov_b32 v9, v172 :: v_dual_mov_b32 v172, v150
	v_mov_b32_e32 v165, v163
	v_mov_b32_e32 v163, v161
	;; [unrolled: 1-line block ×7, first 2 shown]
	v_dual_mov_b32 v151, v149 :: v_dual_mov_b32 v150, v148
	v_mov_b32_e32 v149, v147
	.loc	1 90 27                         ; layer_norm_bwd.py:90:27
	s_wait_kmcnt 0x0
	v_add_co_u32 v147, s0, s8, v128
	s_wait_alu depctr_va_sdst(0)
	v_add_co_ci_u32_e64 v148, null, s9, v129, s0
	.loc	1 90 22                         ; layer_norm_bwd.py:90:22
	global_load_b32 v7, v[147:148], off
	v_dual_mov_b32 v147, v149 :: v_dual_mov_b32 v148, v150
	v_mov_b32_e32 v150, v172
	v_dual_mov_b32 v172, v9 :: v_dual_mov_b32 v149, v151
	v_mov_b32_e32 v151, v153
	v_mov_b32_e32 v153, v155
	;; [unrolled: 1-line block ×12, first 2 shown]
.LBB0_131:                              ;   in Loop: Header=BB0_3 Depth=1
	.loc	1 0 22                          ; layer_norm_bwd.py:0:22
	s_wait_alu depctr_sa_sdst(0)
	s_or_b32 exec_lo, exec_lo, s30
	s_delay_alu instid0(SALU_CYCLE_1)
	.loc	1 91 22 is_stmt 1               ; layer_norm_bwd.py:91:22
	s_mov_b32 s30, exec_lo
	v_readlane_b32 s0, v254, 23
	s_wait_alu depctr_sa_sdst(0)
	s_and_b32 s0, s30, s0
	s_wait_alu depctr_sa_sdst(0)
	s_mov_b32 exec_lo, s0
	s_cbranch_execz .LBB0_133
; %bb.132:                              ;   in Loop: Header=BB0_3 Depth=1
	.loc	1 0 22 is_stmt 0                ; layer_norm_bwd.py:0:22
	v_lshlrev_b64_e32 v[2:3], 2, v[2:3]
	s_wait_kmcnt 0x0
	s_delay_alu instid0(VALU_DEP_1) | instskip(SKIP_1) | instid1(VALU_DEP_2)
	v_add_co_u32 v2, s0, s10, v2
	s_wait_alu depctr_va_sdst(0)
	v_add_co_ci_u32_e64 v3, null, s11, v3, s0
	.loc	1 91 22                         ; layer_norm_bwd.py:91:22
	global_load_b32 v146, v[2:3], off
.LBB0_133:                              ;   in Loop: Header=BB0_3 Depth=1
	.loc	1 0 22                          ; layer_norm_bwd.py:0:22
	s_or_b32 exec_lo, exec_lo, s30
	v_dual_mov_b32 v2, 0 :: v_dual_mov_b32 v3, 0
	.loc	1 91 22                         ; layer_norm_bwd.py:91:22
	s_mov_b32 s30, exec_lo
	v_readlane_b32 s0, v254, 24
	s_wait_alu depctr_sa_sdst(0)
	s_and_b32 s0, s30, s0
	s_wait_alu depctr_sa_sdst(0)
	s_mov_b32 exec_lo, s0
	s_cbranch_execz .LBB0_135
; %bb.134:                              ;   in Loop: Header=BB0_3 Depth=1
	.loc	1 91 27                         ; layer_norm_bwd.py:91:27
	s_wait_kmcnt 0x0
	v_add_co_u32 v147, s0, s10, v147
	s_wait_alu depctr_va_sdst(0)
	v_add_co_ci_u32_e64 v148, null, s11, v148, s0
	.loc	1 91 22                         ; layer_norm_bwd.py:91:22
	global_load_b32 v3, v[147:148], off
.LBB0_135:                              ;   in Loop: Header=BB0_3 Depth=1
	.loc	1 0 22                          ; layer_norm_bwd.py:0:22
	s_or_b32 exec_lo, exec_lo, s30
	s_delay_alu instid0(SALU_CYCLE_1)
	.loc	1 91 22                         ; layer_norm_bwd.py:91:22
	s_mov_b32 s30, exec_lo
	v_readlane_b32 s0, v254, 25
	s_wait_alu depctr_sa_sdst(0)
	s_and_b32 s0, s30, s0
	s_wait_alu depctr_sa_sdst(0)
	s_mov_b32 exec_lo, s0
	s_cbranch_execz .LBB0_137
; %bb.136:                              ;   in Loop: Header=BB0_3 Depth=1
	.loc	1 0 22                          ; layer_norm_bwd.py:0:22
	scratch_load_b64 v[8:9], off, off offset:264 th:TH_LOAD_LU ; 8-byte Folded Reload
	.loc	1 91 27                         ; layer_norm_bwd.py:91:27
	s_wait_loadcnt 0x0
	s_wait_kmcnt 0x0
	v_add_co_u32 v147, s0, s10, v8
	s_wait_alu depctr_va_sdst(0)
	v_add_co_ci_u32_e64 v148, null, s11, v9, s0
	.loc	1 91 22                         ; layer_norm_bwd.py:91:22
	global_load_b32 v2, v[147:148], off
.LBB0_137:                              ;   in Loop: Header=BB0_3 Depth=1
	.loc	1 0 22                          ; layer_norm_bwd.py:0:22
	s_or_b32 exec_lo, exec_lo, s30
	v_dual_mov_b32 v147, 0 :: v_dual_mov_b32 v148, 0
	.loc	1 91 22                         ; layer_norm_bwd.py:91:22
	s_mov_b32 s30, exec_lo
	v_readlane_b32 s0, v254, 26
	s_wait_alu depctr_sa_sdst(0)
	s_and_b32 s0, s30, s0
	s_wait_alu depctr_sa_sdst(0)
	s_mov_b32 exec_lo, s0
	s_cbranch_execz .LBB0_139
; %bb.138:                              ;   in Loop: Header=BB0_3 Depth=1
	.loc	1 0 22                          ; layer_norm_bwd.py:0:22
	scratch_load_b64 v[8:9], off, off offset:272 th:TH_LOAD_LU ; 8-byte Folded Reload
	.loc	1 91 27                         ; layer_norm_bwd.py:91:27
	s_wait_loadcnt 0x0
	s_wait_kmcnt 0x0
	v_add_co_u32 v8, s0, s10, v8
	s_wait_alu depctr_va_sdst(0)
	v_add_co_ci_u32_e64 v9, null, s11, v9, s0
	.loc	1 91 22                         ; layer_norm_bwd.py:91:22
	global_load_b32 v148, v[8:9], off
.LBB0_139:                              ;   in Loop: Header=BB0_3 Depth=1
	.loc	1 0 22                          ; layer_norm_bwd.py:0:22
	s_or_b32 exec_lo, exec_lo, s30
	s_delay_alu instid0(SALU_CYCLE_1)
	.loc	1 91 22                         ; layer_norm_bwd.py:91:22
	s_mov_b32 s30, exec_lo
	v_readlane_b32 s0, v254, 27
	s_wait_alu depctr_sa_sdst(0)
	s_and_b32 s0, s30, s0
	s_wait_alu depctr_sa_sdst(0)
	s_mov_b32 exec_lo, s0
	s_cbranch_execz .LBB0_141
; %bb.140:                              ;   in Loop: Header=BB0_3 Depth=1
	.loc	1 91 27                         ; layer_norm_bwd.py:91:27
	s_wait_kmcnt 0x0
	v_add_co_u32 v8, s0, s10, v10
	s_wait_alu depctr_va_sdst(0)
	v_add_co_ci_u32_e64 v9, null, s11, v11, s0
	.loc	1 91 22                         ; layer_norm_bwd.py:91:22
	global_load_b32 v147, v[8:9], off
.LBB0_141:                              ;   in Loop: Header=BB0_3 Depth=1
	.loc	1 0 22                          ; layer_norm_bwd.py:0:22
	s_or_b32 exec_lo, exec_lo, s30
	v_dual_mov_b32 v8, 0 :: v_dual_mov_b32 v9, 0
	.loc	1 91 22                         ; layer_norm_bwd.py:91:22
	s_mov_b32 s30, exec_lo
	v_readlane_b32 s0, v254, 28
	s_wait_alu depctr_sa_sdst(0)
	s_and_b32 s0, s30, s0
	s_wait_alu depctr_sa_sdst(0)
	s_mov_b32 exec_lo, s0
	s_cbranch_execz .LBB0_143
; %bb.142:                              ;   in Loop: Header=BB0_3 Depth=1
	.loc	1 91 27                         ; layer_norm_bwd.py:91:27
	s_wait_kmcnt 0x0
	v_add_co_u32 v9, s0, s10, v12
	s_wait_alu depctr_va_sdst(0)
	v_add_co_ci_u32_e64 v10, null, s11, v13, s0
	.loc	1 91 22                         ; layer_norm_bwd.py:91:22
	global_load_b32 v9, v[9:10], off
.LBB0_143:                              ;   in Loop: Header=BB0_3 Depth=1
	.loc	1 0 22                          ; layer_norm_bwd.py:0:22
	s_or_b32 exec_lo, exec_lo, s30
	s_delay_alu instid0(SALU_CYCLE_1)
	.loc	1 91 22                         ; layer_norm_bwd.py:91:22
	s_mov_b32 s30, exec_lo
	v_readlane_b32 s0, v254, 29
	s_wait_alu depctr_sa_sdst(0)
	s_and_b32 s0, s30, s0
	s_wait_alu depctr_sa_sdst(0)
	s_mov_b32 exec_lo, s0
	s_cbranch_execz .LBB0_145
; %bb.144:                              ;   in Loop: Header=BB0_3 Depth=1
	.loc	1 91 27                         ; layer_norm_bwd.py:91:27
	s_wait_kmcnt 0x0
	v_add_co_u32 v10, s0, s10, v14
	s_wait_alu depctr_va_sdst(0)
	v_add_co_ci_u32_e64 v11, null, s11, v15, s0
	.loc	1 91 22                         ; layer_norm_bwd.py:91:22
	global_load_b32 v8, v[10:11], off
.LBB0_145:                              ;   in Loop: Header=BB0_3 Depth=1
	.loc	1 0 22                          ; layer_norm_bwd.py:0:22
	s_or_b32 exec_lo, exec_lo, s30
	v_dual_mov_b32 v10, 0 :: v_dual_mov_b32 v11, 0
	.loc	1 91 22                         ; layer_norm_bwd.py:91:22
	s_mov_b32 s30, exec_lo
	v_readlane_b32 s0, v254, 30
	s_wait_alu depctr_sa_sdst(0)
	s_and_b32 s0, s30, s0
	s_wait_alu depctr_sa_sdst(0)
	s_mov_b32 exec_lo, s0
	s_cbranch_execz .LBB0_147
; %bb.146:                              ;   in Loop: Header=BB0_3 Depth=1
	.loc	1 91 27                         ; layer_norm_bwd.py:91:27
	s_wait_kmcnt 0x0
	v_add_co_u32 v11, s0, s10, v16
	s_wait_alu depctr_va_sdst(0)
	v_add_co_ci_u32_e64 v12, null, s11, v17, s0
	.loc	1 91 22                         ; layer_norm_bwd.py:91:22
	global_load_b32 v11, v[11:12], off
.LBB0_147:                              ;   in Loop: Header=BB0_3 Depth=1
	;; [unrolled: 40-line block ×5, first 2 shown]
	.loc	1 0 22                          ; layer_norm_bwd.py:0:22
	s_or_b32 exec_lo, exec_lo, s30
	s_delay_alu instid0(SALU_CYCLE_1)
	.loc	1 91 22                         ; layer_norm_bwd.py:91:22
	s_mov_b32 s30, exec_lo
	v_readlane_b32 s0, v255, 5
	s_wait_alu depctr_sa_sdst(0)
	s_and_b32 s0, s30, s0
	s_wait_alu depctr_sa_sdst(0)
	s_mov_b32 exec_lo, s0
	s_cbranch_execz .LBB0_161
; %bb.160:                              ;   in Loop: Header=BB0_3 Depth=1
	.loc	1 91 27                         ; layer_norm_bwd.py:91:27
	s_wait_kmcnt 0x0
	v_add_co_u32 v18, s0, s10, v30
	s_wait_alu depctr_va_sdst(0)
	v_add_co_ci_u32_e64 v19, null, s11, v31, s0
	.loc	1 91 22                         ; layer_norm_bwd.py:91:22
	global_load_b32 v16, v[18:19], off
.LBB0_161:                              ;   in Loop: Header=BB0_3 Depth=1
	.loc	1 0 22                          ; layer_norm_bwd.py:0:22
	s_or_b32 exec_lo, exec_lo, s30
	v_dual_mov_b32 v18, 0 :: v_dual_mov_b32 v19, 0
	.loc	1 91 22                         ; layer_norm_bwd.py:91:22
	s_and_saveexec_b32 s30, s95
	s_cbranch_execz .LBB0_163
; %bb.162:                              ;   in Loop: Header=BB0_3 Depth=1
	.loc	1 91 27                         ; layer_norm_bwd.py:91:27
	s_wait_kmcnt 0x0
	v_add_co_u32 v19, s0, s10, v32
	s_wait_alu depctr_va_sdst(0)
	v_add_co_ci_u32_e64 v20, null, s11, v33, s0
	.loc	1 91 22                         ; layer_norm_bwd.py:91:22
	global_load_b32 v19, v[19:20], off
.LBB0_163:                              ;   in Loop: Header=BB0_3 Depth=1
	.loc	1 0 22                          ; layer_norm_bwd.py:0:22
	s_wait_alu depctr_sa_sdst(0)
	s_or_b32 exec_lo, exec_lo, s30
	.loc	1 91 22                         ; layer_norm_bwd.py:91:22
	s_and_saveexec_b32 s30, s96
	s_cbranch_execz .LBB0_165
; %bb.164:                              ;   in Loop: Header=BB0_3 Depth=1
	.loc	1 91 27                         ; layer_norm_bwd.py:91:27
	s_wait_kmcnt 0x0
	v_add_co_u32 v20, s0, s10, v34
	s_wait_alu depctr_va_sdst(0)
	v_add_co_ci_u32_e64 v21, null, s11, v35, s0
	.loc	1 91 22                         ; layer_norm_bwd.py:91:22
	global_load_b32 v18, v[20:21], off
.LBB0_165:                              ;   in Loop: Header=BB0_3 Depth=1
	.loc	1 0 22                          ; layer_norm_bwd.py:0:22
	s_wait_alu depctr_sa_sdst(0)
	s_or_b32 exec_lo, exec_lo, s30
	v_dual_mov_b32 v20, 0 :: v_dual_mov_b32 v21, 0
	.loc	1 91 22                         ; layer_norm_bwd.py:91:22
	s_and_saveexec_b32 s30, s97
	s_cbranch_execz .LBB0_167
; %bb.166:                              ;   in Loop: Header=BB0_3 Depth=1
	.loc	1 91 27                         ; layer_norm_bwd.py:91:27
	s_wait_kmcnt 0x0
	v_add_co_u32 v21, s0, s10, v36
	s_wait_alu depctr_va_sdst(0)
	v_add_co_ci_u32_e64 v22, null, s11, v37, s0
	.loc	1 91 22                         ; layer_norm_bwd.py:91:22
	global_load_b32 v21, v[21:22], off
.LBB0_167:                              ;   in Loop: Header=BB0_3 Depth=1
	.loc	1 0 22                          ; layer_norm_bwd.py:0:22
	s_wait_alu depctr_sa_sdst(0)
	s_or_b32 exec_lo, exec_lo, s30
	.loc	1 91 22                         ; layer_norm_bwd.py:91:22
	s_and_saveexec_b32 s30, s98
	s_cbranch_execz .LBB0_169
; %bb.168:                              ;   in Loop: Header=BB0_3 Depth=1
	.loc	1 91 27                         ; layer_norm_bwd.py:91:27
	s_wait_kmcnt 0x0
	v_add_co_u32 v22, s0, s10, v38
	s_wait_alu depctr_va_sdst(0)
	v_add_co_ci_u32_e64 v23, null, s11, v39, s0
	.loc	1 91 22                         ; layer_norm_bwd.py:91:22
	global_load_b32 v20, v[22:23], off
.LBB0_169:                              ;   in Loop: Header=BB0_3 Depth=1
	.loc	1 0 22                          ; layer_norm_bwd.py:0:22
	s_wait_alu depctr_sa_sdst(0)
	;; [unrolled: 31-line block ×5, first 2 shown]
	s_or_b32 exec_lo, exec_lo, s30
	v_dual_mov_b32 v28, 0 :: v_dual_mov_b32 v29, 0
	.loc	1 91 22                         ; layer_norm_bwd.py:91:22
	s_and_saveexec_b32 s30, vcc_hi
	s_cbranch_execz .LBB0_183
; %bb.182:                              ;   in Loop: Header=BB0_3 Depth=1
	.loc	1 91 27                         ; layer_norm_bwd.py:91:27
	s_wait_kmcnt 0x0
	v_add_co_u32 v29, s0, s10, v52
	s_wait_alu depctr_va_sdst(0)
	v_add_co_ci_u32_e64 v30, null, s11, v53, s0
	.loc	1 91 22                         ; layer_norm_bwd.py:91:22
	global_load_b32 v29, v[29:30], off
.LBB0_183:                              ;   in Loop: Header=BB0_3 Depth=1
	.loc	1 0 22                          ; layer_norm_bwd.py:0:22
	s_wait_alu depctr_sa_sdst(0)
	s_or_b32 exec_lo, exec_lo, s30
	.loc	1 91 22                         ; layer_norm_bwd.py:91:22
	s_and_saveexec_b32 s30, s4
	s_cbranch_execz .LBB0_185
; %bb.184:                              ;   in Loop: Header=BB0_3 Depth=1
	.loc	1 91 27                         ; layer_norm_bwd.py:91:27
	s_wait_kmcnt 0x0
	v_add_co_u32 v30, s0, s10, v54
	s_wait_alu depctr_va_sdst(0)
	v_add_co_ci_u32_e64 v31, null, s11, v55, s0
	.loc	1 91 22                         ; layer_norm_bwd.py:91:22
	global_load_b32 v28, v[30:31], off
.LBB0_185:                              ;   in Loop: Header=BB0_3 Depth=1
	.loc	1 0 22                          ; layer_norm_bwd.py:0:22
	s_wait_alu depctr_sa_sdst(0)
	s_or_b32 exec_lo, exec_lo, s30
	v_dual_mov_b32 v30, 0 :: v_dual_mov_b32 v31, 0
	.loc	1 91 22                         ; layer_norm_bwd.py:91:22
	s_and_saveexec_b32 s4, s5
	s_cbranch_execz .LBB0_187
; %bb.186:                              ;   in Loop: Header=BB0_3 Depth=1
	.loc	1 91 27                         ; layer_norm_bwd.py:91:27
	s_wait_kmcnt 0x0
	v_add_co_u32 v31, s0, s10, v56
	s_wait_alu depctr_va_sdst(0)
	v_add_co_ci_u32_e64 v32, null, s11, v57, s0
	.loc	1 91 22                         ; layer_norm_bwd.py:91:22
	global_load_b32 v31, v[31:32], off
.LBB0_187:                              ;   in Loop: Header=BB0_3 Depth=1
	.loc	1 0 22                          ; layer_norm_bwd.py:0:22
	s_wait_alu depctr_sa_sdst(0)
	s_or_b32 exec_lo, exec_lo, s4
	.loc	1 91 22                         ; layer_norm_bwd.py:91:22
	s_and_saveexec_b32 s4, s6
	s_cbranch_execz .LBB0_189
; %bb.188:                              ;   in Loop: Header=BB0_3 Depth=1
	.loc	1 91 27                         ; layer_norm_bwd.py:91:27
	s_wait_kmcnt 0x0
	v_add_co_u32 v32, s0, s10, v58
	s_wait_alu depctr_va_sdst(0)
	v_add_co_ci_u32_e64 v33, null, s11, v59, s0
	.loc	1 91 22                         ; layer_norm_bwd.py:91:22
	global_load_b32 v30, v[32:33], off
.LBB0_189:                              ;   in Loop: Header=BB0_3 Depth=1
	.loc	1 0 22                          ; layer_norm_bwd.py:0:22
	s_wait_alu depctr_sa_sdst(0)
	s_or_b32 exec_lo, exec_lo, s4
	v_dual_mov_b32 v32, 0 :: v_dual_mov_b32 v33, 0
	.loc	1 91 22                         ; layer_norm_bwd.py:91:22
	s_and_saveexec_b32 s4, s7
	;; [unrolled: 31-line block ×18, first 2 shown]
	s_cbranch_execnz .LBB0_256
; %bb.254:                              ;   in Loop: Header=BB0_3 Depth=1
	.loc	1 0 22                          ; layer_norm_bwd.py:0:22
	s_wait_alu depctr_sa_sdst(0)
	s_or_b32 exec_lo, exec_lo, s1
	.loc	1 91 22                         ; layer_norm_bwd.py:91:22
	s_and_saveexec_b32 s1, s29
	s_cbranch_execnz .LBB0_257
.LBB0_255:                              ;   in Loop: Header=BB0_3 Depth=1
	.loc	1 0 22                          ; layer_norm_bwd.py:0:22
	s_wait_alu depctr_sa_sdst(0)
	s_or_b32 exec_lo, exec_lo, s1
	v_mov_b32_e32 v66, 0
	.loc	1 91 22                         ; layer_norm_bwd.py:91:22
	s_and_saveexec_b32 s1, s81
	s_cbranch_execz .LBB0_2
	s_branch .LBB0_258
.LBB0_256:                              ;   in Loop: Header=BB0_3 Depth=1
	.loc	1 91 27                         ; layer_norm_bwd.py:91:27
	s_wait_kmcnt 0x0
	v_add_co_u32 v65, s0, s10, v124
	s_wait_alu depctr_va_sdst(0)
	v_add_co_ci_u32_e64 v66, null, s11, v125, s0
	.loc	1 91 22                         ; layer_norm_bwd.py:91:22
	global_load_b32 v65, v[65:66], off
	s_wait_alu depctr_sa_sdst(0)
	s_or_b32 exec_lo, exec_lo, s1
	s_and_saveexec_b32 s1, s29
	s_cbranch_execz .LBB0_255
.LBB0_257:                              ;   in Loop: Header=BB0_3 Depth=1
	.loc	1 91 27                         ; layer_norm_bwd.py:91:27
	s_wait_kmcnt 0x0
	v_add_co_u32 v66, s0, s10, v126
	s_wait_alu depctr_va_sdst(0)
	v_add_co_ci_u32_e64 v67, null, s11, v127, s0
	.loc	1 91 22                         ; layer_norm_bwd.py:91:22
	global_load_b32 v64, v[66:67], off
	s_wait_alu depctr_sa_sdst(0)
	s_or_b32 exec_lo, exec_lo, s1
	v_mov_b32_e32 v66, 0
	s_and_saveexec_b32 s1, s81
	s_cbranch_execz .LBB0_2
.LBB0_258:                              ;   in Loop: Header=BB0_3 Depth=1
	.loc	1 91 27                         ; layer_norm_bwd.py:91:27
	s_wait_kmcnt 0x0
	v_add_co_u32 v66, s0, s10, v128
	s_wait_alu depctr_va_sdst(0)
	v_add_co_ci_u32_e64 v67, null, s11, v129, s0
	.loc	1 91 22                         ; layer_norm_bwd.py:91:22
	global_load_b32 v66, v[66:67], off
	s_branch .LBB0_2
.LBB0_259:                              ; %._crit_edge.loopexit
.Ltmp1:
	.file	2 "/root/.local/lib/python3.13/site-packages/triton/language" "standard.py"
	.loc	2 263 15 is_stmt 1              ; standard.py:263:15 @[ standard.py:293:36 @[ layer_norm_bwd.py:94:20 ] ]
	v_add_f32_e32 v2, v193, v195
	s_wait_kmcnt 0x0
	v_readlane_b32 s8, v254, 1
	v_readlane_b32 s9, v254, 2
	;; [unrolled: 1-line block ×4, first 2 shown]
	v_add_f32_e32 v2, v194, v2
	v_readlane_b32 s6, v254, 21
	s_delay_alu instid0(VALU_DEP_2) | instskip(SKIP_1) | instid1(VALU_DEP_1)
	v_add_f32_e32 v2, v192, v2
.Ltmp2:
	.loc	2 293 36                        ; standard.py:293:36 @[ layer_norm_bwd.py:93:20 ]
	v_add_f32_e32 v0, v132, v0
	v_add_f32_e32 v0, v5, v0
	s_delay_alu instid0(VALU_DEP_1) | instskip(NEXT) | instid1(VALU_DEP_1)
	v_add_f32_e32 v0, v4, v0
	v_dual_add_f32 v0, v1, v0 :: v_dual_add_f32 v1, v191, v2
.Ltmp3:
	.loc	2 263 15                        ; standard.py:263:15 @[ standard.py:293:36 @[ layer_norm_bwd.py:94:20 ] ]
	scratch_load_b32 v2, off, off offset:260 th:TH_LOAD_LU ; 4-byte Folded Reload
	v_add_f32_e32 v1, v190, v1
	s_delay_alu instid0(VALU_DEP_1) | instskip(NEXT) | instid1(VALU_DEP_1)
	v_add_f32_e32 v1, v189, v1
	v_add_f32_e32 v1, v188, v1
	s_delay_alu instid0(VALU_DEP_1) | instskip(NEXT) | instid1(VALU_DEP_1)
	v_add_f32_e32 v1, v187, v1
	;; [unrolled: 3-line block ×3, first 2 shown]
	v_dual_add_f32 v1, v184, v1 :: v_dual_add_f32 v0, v130, v0
	s_delay_alu instid0(VALU_DEP_1) | instskip(NEXT) | instid1(VALU_DEP_1)
	v_dual_add_f32 v1, v183, v1 :: v_dual_add_f32 v0, v253, v0
	v_dual_add_f32 v1, v182, v1 :: v_dual_add_f32 v0, v252, v0
	s_delay_alu instid0(VALU_DEP_1) | instskip(NEXT) | instid1(VALU_DEP_1)
	v_dual_add_f32 v1, v181, v1 :: v_dual_add_f32 v0, v251, v0
	v_dual_add_f32 v1, v180, v1 :: v_dual_add_f32 v0, v250, v0
	s_delay_alu instid0(VALU_DEP_1) | instskip(NEXT) | instid1(VALU_DEP_1)
	v_dual_add_f32 v1, v179, v1 :: v_dual_add_f32 v0, v249, v0
	v_dual_add_f32 v1, v178, v1 :: v_dual_add_f32 v0, v248, v0
	s_delay_alu instid0(VALU_DEP_1) | instskip(NEXT) | instid1(VALU_DEP_1)
	v_dual_add_f32 v1, v177, v1 :: v_dual_add_f32 v0, v247, v0
	v_dual_add_f32 v1, v176, v1 :: v_dual_add_f32 v0, v246, v0
	s_delay_alu instid0(VALU_DEP_1) | instskip(NEXT) | instid1(VALU_DEP_1)
	v_dual_add_f32 v1, v175, v1 :: v_dual_add_f32 v0, v245, v0
	v_dual_add_f32 v1, v174, v1 :: v_dual_add_f32 v0, v244, v0
	s_delay_alu instid0(VALU_DEP_1) | instskip(NEXT) | instid1(VALU_DEP_1)
	v_dual_add_f32 v1, v173, v1 :: v_dual_add_f32 v0, v243, v0
	v_dual_add_f32 v1, v171, v1 :: v_dual_add_f32 v0, v242, v0
	s_delay_alu instid0(VALU_DEP_1) | instskip(NEXT) | instid1(VALU_DEP_1)
	v_dual_add_f32 v1, v170, v1 :: v_dual_add_f32 v0, v241, v0
	v_dual_add_f32 v1, v133, v1 :: v_dual_add_f32 v0, v240, v0
	s_delay_alu instid0(VALU_DEP_1) | instskip(NEXT) | instid1(VALU_DEP_1)
	v_dual_add_f32 v1, v169, v1 :: v_dual_add_f32 v0, v239, v0
	v_dual_add_f32 v1, v168, v1 :: v_dual_add_f32 v0, v238, v0
	s_delay_alu instid0(VALU_DEP_1) | instskip(NEXT) | instid1(VALU_DEP_1)
	v_dual_add_f32 v1, v167, v1 :: v_dual_add_f32 v0, v237, v0
	v_dual_add_f32 v1, v166, v1 :: v_dual_add_f32 v0, v236, v0
	s_delay_alu instid0(VALU_DEP_1) | instskip(NEXT) | instid1(VALU_DEP_1)
	v_dual_add_f32 v1, v165, v1 :: v_dual_add_f32 v0, v235, v0
	v_dual_add_f32 v1, v164, v1 :: v_dual_add_f32 v0, v234, v0
	s_delay_alu instid0(VALU_DEP_1) | instskip(NEXT) | instid1(VALU_DEP_1)
	v_dual_add_f32 v1, v163, v1 :: v_dual_add_f32 v0, v233, v0
	v_dual_add_f32 v1, v162, v1 :: v_dual_add_f32 v0, v232, v0
	s_delay_alu instid0(VALU_DEP_1) | instskip(NEXT) | instid1(VALU_DEP_1)
	v_dual_add_f32 v1, v161, v1 :: v_dual_add_f32 v0, v231, v0
	v_dual_add_f32 v1, v160, v1 :: v_dual_add_f32 v0, v230, v0
	s_delay_alu instid0(VALU_DEP_1) | instskip(NEXT) | instid1(VALU_DEP_1)
	v_dual_add_f32 v1, v159, v1 :: v_dual_add_f32 v0, v229, v0
	v_dual_add_f32 v1, v158, v1 :: v_dual_add_f32 v0, v228, v0
	s_delay_alu instid0(VALU_DEP_1) | instskip(NEXT) | instid1(VALU_DEP_1)
	v_dual_add_f32 v1, v157, v1 :: v_dual_add_f32 v0, v227, v0
	v_dual_add_f32 v1, v156, v1 :: v_dual_add_f32 v0, v226, v0
	s_delay_alu instid0(VALU_DEP_1) | instskip(NEXT) | instid1(VALU_DEP_1)
	v_dual_add_f32 v1, v155, v1 :: v_dual_add_f32 v0, v225, v0
	v_dual_add_f32 v1, v154, v1 :: v_dual_add_f32 v0, v224, v0
	s_delay_alu instid0(VALU_DEP_1) | instskip(NEXT) | instid1(VALU_DEP_1)
	v_dual_add_f32 v1, v153, v1 :: v_dual_add_f32 v0, v223, v0
	v_dual_add_f32 v1, v152, v1 :: v_dual_add_f32 v0, v222, v0
	s_delay_alu instid0(VALU_DEP_1) | instskip(NEXT) | instid1(VALU_DEP_1)
	v_dual_add_f32 v1, v151, v1 :: v_dual_add_f32 v0, v221, v0
	v_dual_add_f32 v1, v150, v1 :: v_dual_add_f32 v0, v220, v0
	s_delay_alu instid0(VALU_DEP_1) | instskip(NEXT) | instid1(VALU_DEP_1)
	v_dual_add_f32 v1, v149, v1 :: v_dual_add_f32 v0, v219, v0
.Ltmp4:
	.loc	2 293 36                        ; standard.py:293:36 @[ layer_norm_bwd.py:93:20 ]
	v_add_f32_e32 v0, v218, v0
	s_wait_loadcnt 0x0
	s_delay_alu instid0(VALU_DEP_1)
	v_dual_add_f32 v0, v217, v0 :: v_dual_add_f32 v1, v2, v1
.Ltmp5:
	.loc	2 263 15                        ; standard.py:263:15 @[ standard.py:293:36 @[ layer_norm_bwd.py:94:20 ] ]
	scratch_load_b32 v2, off, off offset:256 th:TH_LOAD_LU ; 4-byte Folded Reload
.Ltmp6:
	.loc	2 293 36                        ; standard.py:293:36 @[ layer_norm_bwd.py:93:20 ]
	s_wait_loadcnt 0x0
	v_dual_add_f32 v0, v216, v0 :: v_dual_add_f32 v1, v2, v1
.Ltmp7:
	.loc	2 263 15                        ; standard.py:263:15 @[ standard.py:293:36 @[ layer_norm_bwd.py:94:20 ] ]
	scratch_load_b32 v2, off, off offset:252 th:TH_LOAD_LU ; 4-byte Folded Reload
.Ltmp8:
	.loc	2 293 36                        ; standard.py:293:36 @[ layer_norm_bwd.py:93:20 ]
	s_wait_loadcnt 0x0
	v_dual_add_f32 v0, v215, v0 :: v_dual_add_f32 v1, v2, v1
.Ltmp9:
	.loc	2 263 15                        ; standard.py:263:15 @[ standard.py:293:36 @[ layer_norm_bwd.py:94:20 ] ]
	scratch_load_b32 v2, off, off offset:248 th:TH_LOAD_LU ; 4-byte Folded Reload
.Ltmp10:
	.loc	2 293 36                        ; standard.py:293:36 @[ layer_norm_bwd.py:93:20 ]
	v_add_f32_e32 v0, v214, v0
	s_wait_loadcnt 0x0
	s_delay_alu instid0(VALU_DEP_1)
	v_dual_add_f32 v0, v213, v0 :: v_dual_add_f32 v1, v2, v1
.Ltmp11:
	.loc	2 263 15                        ; standard.py:263:15 @[ standard.py:293:36 @[ layer_norm_bwd.py:94:20 ] ]
	scratch_load_b32 v2, off, off offset:244 th:TH_LOAD_LU ; 4-byte Folded Reload
.Ltmp12:
	.loc	2 293 36                        ; standard.py:293:36 @[ layer_norm_bwd.py:93:20 ]
	s_wait_loadcnt 0x0
	v_dual_add_f32 v0, v212, v0 :: v_dual_add_f32 v1, v2, v1
.Ltmp13:
	.loc	2 263 15                        ; standard.py:263:15 @[ standard.py:293:36 @[ layer_norm_bwd.py:94:20 ] ]
	scratch_load_b32 v2, off, off offset:240 th:TH_LOAD_LU ; 4-byte Folded Reload
.Ltmp14:
	.loc	2 293 36                        ; standard.py:293:36 @[ layer_norm_bwd.py:93:20 ]
	s_wait_loadcnt 0x0
	v_dual_add_f32 v0, v211, v0 :: v_dual_add_f32 v1, v2, v1
.Ltmp15:
	.loc	2 263 15                        ; standard.py:263:15 @[ standard.py:293:36 @[ layer_norm_bwd.py:94:20 ] ]
	scratch_load_b32 v2, off, off offset:236 th:TH_LOAD_LU ; 4-byte Folded Reload
.Ltmp16:
	.loc	2 293 36                        ; standard.py:293:36 @[ layer_norm_bwd.py:93:20 ]
	v_add_f32_e32 v0, v210, v0
	s_wait_loadcnt 0x0
	s_delay_alu instid0(VALU_DEP_1)
	v_dual_add_f32 v0, v209, v0 :: v_dual_add_f32 v1, v2, v1
.Ltmp17:
	.loc	2 263 15                        ; standard.py:263:15 @[ standard.py:293:36 @[ layer_norm_bwd.py:94:20 ] ]
	scratch_load_b32 v2, off, off offset:232 th:TH_LOAD_LU ; 4-byte Folded Reload
.Ltmp18:
	.loc	2 293 36                        ; standard.py:293:36 @[ layer_norm_bwd.py:93:20 ]
	s_wait_loadcnt 0x0
	v_dual_add_f32 v0, v208, v0 :: v_dual_add_f32 v1, v2, v1
.Ltmp19:
	.loc	2 263 15                        ; standard.py:263:15 @[ standard.py:293:36 @[ layer_norm_bwd.py:94:20 ] ]
	scratch_load_b32 v2, off, off offset:228 th:TH_LOAD_LU ; 4-byte Folded Reload
.Ltmp20:
	.loc	2 293 36                        ; standard.py:293:36 @[ layer_norm_bwd.py:93:20 ]
	s_wait_loadcnt 0x0
	v_dual_add_f32 v0, v207, v0 :: v_dual_add_f32 v1, v2, v1
.Ltmp21:
	.loc	2 263 15                        ; standard.py:263:15 @[ standard.py:293:36 @[ layer_norm_bwd.py:94:20 ] ]
	scratch_load_b32 v2, off, off offset:224 th:TH_LOAD_LU ; 4-byte Folded Reload
.Ltmp22:
	.loc	2 293 36                        ; standard.py:293:36 @[ layer_norm_bwd.py:93:20 ]
	v_add_f32_e32 v0, v206, v0
	s_wait_loadcnt 0x0
	s_delay_alu instid0(VALU_DEP_1)
	v_dual_add_f32 v0, v205, v0 :: v_dual_add_f32 v1, v2, v1
.Ltmp23:
	.loc	2 263 15                        ; standard.py:263:15 @[ standard.py:293:36 @[ layer_norm_bwd.py:94:20 ] ]
	scratch_load_b32 v2, off, off offset:220 th:TH_LOAD_LU ; 4-byte Folded Reload
.Ltmp24:
	.loc	2 293 36                        ; standard.py:293:36 @[ layer_norm_bwd.py:93:20 ]
	s_wait_loadcnt 0x0
	v_dual_add_f32 v0, v204, v0 :: v_dual_add_f32 v1, v2, v1
.Ltmp25:
	.loc	2 263 15                        ; standard.py:263:15 @[ standard.py:293:36 @[ layer_norm_bwd.py:94:20 ] ]
	scratch_load_b32 v2, off, off offset:216 th:TH_LOAD_LU ; 4-byte Folded Reload
.Ltmp26:
	.loc	2 293 36                        ; standard.py:293:36 @[ layer_norm_bwd.py:93:20 ]
	s_wait_loadcnt 0x0
	v_dual_add_f32 v0, v203, v0 :: v_dual_add_f32 v1, v2, v1
.Ltmp27:
	.loc	2 263 15                        ; standard.py:263:15 @[ standard.py:293:36 @[ layer_norm_bwd.py:94:20 ] ]
	scratch_load_b32 v2, off, off offset:212 th:TH_LOAD_LU ; 4-byte Folded Reload
.Ltmp28:
	.loc	2 293 36                        ; standard.py:293:36 @[ layer_norm_bwd.py:93:20 ]
	v_add_f32_e32 v0, v202, v0
	s_wait_loadcnt 0x0
	s_delay_alu instid0(VALU_DEP_1)
	v_dual_add_f32 v0, v201, v0 :: v_dual_add_f32 v1, v2, v1
.Ltmp29:
	.loc	2 263 15                        ; standard.py:263:15 @[ standard.py:293:36 @[ layer_norm_bwd.py:94:20 ] ]
	scratch_load_b32 v2, off, off offset:208 th:TH_LOAD_LU ; 4-byte Folded Reload
.Ltmp30:
	.loc	2 293 36                        ; standard.py:293:36 @[ layer_norm_bwd.py:93:20 ]
	s_wait_loadcnt 0x0
	v_dual_add_f32 v0, v200, v0 :: v_dual_add_f32 v1, v2, v1
.Ltmp31:
	.loc	2 263 15                        ; standard.py:263:15 @[ standard.py:293:36 @[ layer_norm_bwd.py:94:20 ] ]
	scratch_load_b32 v2, off, off offset:204 th:TH_LOAD_LU ; 4-byte Folded Reload
.Ltmp32:
	.loc	2 293 36                        ; standard.py:293:36 @[ layer_norm_bwd.py:93:20 ]
	s_wait_loadcnt 0x0
	v_dual_add_f32 v0, v199, v0 :: v_dual_add_f32 v1, v2, v1
.Ltmp33:
	.loc	2 263 15                        ; standard.py:263:15 @[ standard.py:293:36 @[ layer_norm_bwd.py:94:20 ] ]
	scratch_load_b32 v2, off, off offset:200 th:TH_LOAD_LU ; 4-byte Folded Reload
.Ltmp34:
	.loc	2 293 36                        ; standard.py:293:36 @[ layer_norm_bwd.py:93:20 ]
	v_add_f32_e32 v0, v198, v0
	s_delay_alu instid0(VALU_DEP_1) | instskip(SKIP_1) | instid1(VALU_DEP_1)
	v_add_f32_e32 v0, v197, v0
.Ltmp35:
	.loc	2 263 15                        ; standard.py:263:15 @[ standard.py:293:36 @[ layer_norm_bwd.py:94:20 ] ]
	s_wait_loadcnt 0x0
	v_dual_add_f32 v2, v2, v1 :: v_dual_add_f32 v1, v196, v0
	scratch_load_b32 v0, off, off offset:196 th:TH_LOAD_LU ; 4-byte Folded Reload
	s_wait_loadcnt 0x0
	v_add_f32_e32 v2, v0, v2
	s_branch .LBB0_261
.Ltmp36:
.LBB0_260:
	.loc	2 0 15 is_stmt 0                ; standard.py:0:15
	v_dual_mov_b32 v1, 0 :: v_dual_mov_b32 v2, 0
.LBB0_261:                              ; %._crit_edge
.Ltmp37:
	.loc	2 293 36 is_stmt 1              ; standard.py:293:36 @[ layer_norm_bwd.py:93:20 ]
	scratch_load_b32 v0, off, off offset:284 th:TH_LOAD_LU ; 4-byte Folded Reload
	s_wait_loadcnt 0x0
	v_lshl_add_u32 v0, v0, 3, 0
	s_wait_alu depctr_sa_sdst(0) depctr_va_sdst(0)
	s_delay_alu instid0(VALU_DEP_1)
	v_lshl_add_u32 v4, s6, 2, v0
	ds_store_b32 v4, v1
	s_wait_storecnt_dscnt 0x0
	s_barrier_signal -1
	scratch_load_b32 v6, off, off offset:280 th:TH_LOAD_LU ; 4-byte Folded Reload
	s_barrier_wait -1
	s_wait_loadcnt 0x0
	global_inv scope:SCOPE_SE
	v_lshl_add_u32 v3, v6, 2, 0
	v_and_b32_e32 v6, 1, v6
	ds_load_b32 v1, v3
	v_cmp_eq_u32_e64 s0, 0, v6
	s_wait_dscnt 0x0
	v_mov_b32_e32 v5, v1
	s_delay_alu instid0(VALU_DEP_1)
	v_mov_b32_dpp v5, v5 quad_perm:[1,0,3,2] row_mask:0xf bank_mask:0xf
	s_and_saveexec_b32 s1, s0
; %bb.262:
	.loc	2 0 36 is_stmt 0                ; standard.py:0:36
	s_delay_alu instid0(VALU_DEP_1)
	v_add_f32_e32 v1, v1, v5
	.loc	2 293 36                        ; standard.py:293:36 @[ layer_norm_bwd.py:93:20 ]
	ds_store_b32 v3, v1
; %bb.263:
	.loc	2 0 36                          ; standard.py:0:36
	s_wait_alu depctr_sa_sdst(0)
	s_or_b32 exec_lo, exec_lo, s1
	.loc	2 293 36                        ; standard.py:293:36 @[ layer_norm_bwd.py:93:20 ]
	s_wait_loadcnt_dscnt 0x0
	s_barrier_signal -1
	s_barrier_wait -1
	global_inv scope:SCOPE_SE
	ds_load_b32 v1, v0
.Ltmp38:
	.loc	2 293 36                        ; standard.py:293:36 @[ layer_norm_bwd.py:94:20 ]
	s_wait_loadcnt_dscnt 0x0
	s_barrier_signal -1
	s_barrier_wait -1
	global_inv scope:SCOPE_SE
	ds_store_b32 v4, v2
	s_wait_loadcnt_dscnt 0x0
	s_barrier_signal -1
	s_barrier_wait -1
	global_inv scope:SCOPE_SE
	ds_load_b32 v2, v3
	s_wait_dscnt 0x0
	v_mov_b32_e32 v4, v2
	s_delay_alu instid0(VALU_DEP_1)
	v_mov_b32_dpp v4, v4 quad_perm:[1,0,3,2] row_mask:0xf bank_mask:0xf
	s_and_saveexec_b32 s1, s0
; %bb.264:
	.loc	2 0 36                          ; standard.py:0:36
	s_delay_alu instid0(VALU_DEP_1)
	v_add_f32_e32 v2, v2, v4
	.loc	2 293 36                        ; standard.py:293:36 @[ layer_norm_bwd.py:94:20 ]
	ds_store_b32 v3, v2
; %bb.265:
	.loc	2 0 36                          ; standard.py:0:36
	s_wait_alu depctr_sa_sdst(0)
	s_or_b32 exec_lo, exec_lo, s1
	.loc	2 293 36                        ; standard.py:293:36 @[ layer_norm_bwd.py:94:20 ]
	s_wait_loadcnt_dscnt 0x0
	s_barrier_signal -1
.Ltmp39:
	.loc	1 95 30 is_stmt 1               ; layer_norm_bwd.py:95:30
	v_readlane_b32 s0, v254, 0
	s_bitcmp0_b32 s0, 2
	s_cselect_b32 s0, -1, 0
	s_wait_alu depctr_sa_sdst(0)
	s_and_b32 s0, s0, vcc_lo
.Ltmp40:
	.loc	2 293 36                        ; standard.py:293:36 @[ layer_norm_bwd.py:94:20 ]
	s_barrier_wait -1
	global_inv scope:SCOPE_SE
.Ltmp41:
	.loc	1 95 30                         ; layer_norm_bwd.py:95:30
	s_wait_alu depctr_sa_sdst(0)
	s_and_saveexec_b32 s1, s0
	s_cbranch_execz .LBB0_267
; %bb.266:
	.loc	1 0 30 is_stmt 0                ; layer_norm_bwd.py:0:30
	scratch_load_b64 v[2:3], off, off offset:288 th:TH_LOAD_LU ; 8-byte Folded Reload
	.loc	1 96 30 is_stmt 1               ; layer_norm_bwd.py:96:30
	ds_load_b32 v0, v0
	s_wait_loadcnt 0x0
	v_ashrrev_i32_e32 v3, 31, v2
	s_delay_alu instid0(VALU_DEP_1) | instskip(NEXT) | instid1(VALU_DEP_1)
	v_lshlrev_b64_e32 v[2:3], 2, v[2:3]
	v_add_co_u32 v4, vcc_lo, s8, v2
	s_delay_alu instid0(VALU_DEP_1)
	v_add_co_ci_u32_e64 v5, null, s9, v3, vcc_lo
	v_add_co_u32 v2, vcc_lo, s10, v2
	s_wait_alu depctr_va_vcc(0)
	v_add_co_ci_u32_e64 v3, null, s11, v3, vcc_lo
	.loc	1 95 30                         ; layer_norm_bwd.py:95:30
	global_store_b32 v[4:5], v1, off
	.loc	1 96 30                         ; layer_norm_bwd.py:96:30
	s_wait_dscnt 0x0
	global_store_b32 v[2:3], v0, off
.LBB0_267:                              ; %.critedge
	.loc	1 96 4                          ; layer_norm_bwd.py:96:4
	s_nop 0
	s_sendmsg sendmsg(MSG_DEALLOC_VGPRS)
	s_endpgm
.Ltmp42:
	.section	.rodata,"a",@progbits
	.p2align	6, 0x0
	.amdhsa_kernel _layer_norm_bwd_dwdb
		.amdhsa_group_segment_fixed_size 0
		.amdhsa_private_segment_fixed_size 300
		.amdhsa_kernarg_size 56
		.amdhsa_user_sgpr_count 2
		.amdhsa_user_sgpr_dispatch_ptr 0
		.amdhsa_user_sgpr_queue_ptr 0
		.amdhsa_user_sgpr_kernarg_segment_ptr 1
		.amdhsa_user_sgpr_dispatch_id 0
		.amdhsa_user_sgpr_private_segment_size 0
		.amdhsa_wavefront_size32 1
		.amdhsa_uses_dynamic_stack 0
		.amdhsa_enable_private_segment 1
		.amdhsa_system_sgpr_workgroup_id_x 1
		.amdhsa_system_sgpr_workgroup_id_y 1
		.amdhsa_system_sgpr_workgroup_id_z 1
		.amdhsa_system_sgpr_workgroup_info 0
		.amdhsa_system_vgpr_workitem_id 0
		.amdhsa_next_free_vgpr 256
		.amdhsa_next_free_sgpr 105
		.amdhsa_reserve_vcc 1
		.amdhsa_float_round_mode_32 0
		.amdhsa_float_round_mode_16_64 0
		.amdhsa_float_denorm_mode_32 3
		.amdhsa_float_denorm_mode_16_64 3
		.amdhsa_fp16_overflow 0
		.amdhsa_workgroup_processor_mode 1
		.amdhsa_memory_ordered 1
		.amdhsa_forward_progress 1
		.amdhsa_inst_pref_size 147
		.amdhsa_round_robin_scheduling 0
		.amdhsa_exception_fp_ieee_invalid_op 0
		.amdhsa_exception_fp_denorm_src 0
		.amdhsa_exception_fp_ieee_div_zero 0
		.amdhsa_exception_fp_ieee_overflow 0
		.amdhsa_exception_fp_ieee_underflow 0
		.amdhsa_exception_fp_ieee_inexact 0
		.amdhsa_exception_int_div_zero 0
	.end_amdhsa_kernel
	.text
.Lfunc_end0:
	.size	_layer_norm_bwd_dwdb, .Lfunc_end0-_layer_norm_bwd_dwdb
	.cfi_endproc
                                        ; -- End function
	.set _layer_norm_bwd_dwdb.num_vgpr, 256
	.set _layer_norm_bwd_dwdb.num_agpr, 0
	.set _layer_norm_bwd_dwdb.numbered_sgpr, 105
	.set _layer_norm_bwd_dwdb.num_named_barrier, 0
	.set _layer_norm_bwd_dwdb.private_seg_size, 300
	.set _layer_norm_bwd_dwdb.uses_vcc, 1
	.set _layer_norm_bwd_dwdb.uses_flat_scratch, 1
	.set _layer_norm_bwd_dwdb.has_dyn_sized_stack, 0
	.set _layer_norm_bwd_dwdb.has_recursion, 0
	.set _layer_norm_bwd_dwdb.has_indirect_call, 0
	.section	.AMDGPU.csdata,"",@progbits
; Kernel info:
; codeLenInByte = 18744
; TotalNumSgprs: 107
; NumVgprs: 256
; ScratchSize: 300
; MemoryBound: 0
; FloatMode: 240
; IeeeMode: 1
; LDSByteSize: 0 bytes/workgroup (compile time only)
; SGPRBlocks: 0
; VGPRBlocks: 31
; NumSGPRsForWavesPerEU: 107
; NumVGPRsForWavesPerEU: 256
; Occupancy: 5
; WaveLimiterHint : 0
; COMPUTE_PGM_RSRC2:SCRATCH_EN: 1
; COMPUTE_PGM_RSRC2:USER_SGPR: 2
; COMPUTE_PGM_RSRC2:TRAP_HANDLER: 0
; COMPUTE_PGM_RSRC2:TGID_X_EN: 1
; COMPUTE_PGM_RSRC2:TGID_Y_EN: 1
; COMPUTE_PGM_RSRC2:TGID_Z_EN: 1
; COMPUTE_PGM_RSRC2:TIDIG_COMP_CNT: 0
	.text
	.p2alignl 7, 3214868480
	.fill 96, 4, 3214868480
	.section	.AMDGPU.gpr_maximums,"",@progbits
	.set amdgpu.max_num_vgpr, 0
	.set amdgpu.max_num_agpr, 0
	.set amdgpu.max_num_sgpr, 0
	.set amdgpu.max_num_named_barrier, 0
	.text
	.section	.debug_abbrev,"",@progbits
	.byte	1                               ; Abbreviation Code
	.byte	17                              ; DW_TAG_compile_unit
	.byte	1                               ; DW_CHILDREN_yes
	.byte	37                              ; DW_AT_producer
	.byte	14                              ; DW_FORM_strp
	.byte	19                              ; DW_AT_language
	.byte	5                               ; DW_FORM_data2
	.byte	3                               ; DW_AT_name
	.byte	14                              ; DW_FORM_strp
	.byte	16                              ; DW_AT_stmt_list
	.byte	23                              ; DW_FORM_sec_offset
	.byte	27                              ; DW_AT_comp_dir
	.byte	14                              ; DW_FORM_strp
	.byte	17                              ; DW_AT_low_pc
	.byte	1                               ; DW_FORM_addr
	.byte	18                              ; DW_AT_high_pc
	.byte	6                               ; DW_FORM_data4
	.byte	0                               ; EOM(1)
	.byte	0                               ; EOM(2)
	.byte	2                               ; Abbreviation Code
	.byte	46                              ; DW_TAG_subprogram
	.byte	0                               ; DW_CHILDREN_no
	.byte	3                               ; DW_AT_name
	.byte	14                              ; DW_FORM_strp
	.byte	32                              ; DW_AT_inline
	.byte	11                              ; DW_FORM_data1
	.byte	0                               ; EOM(1)
	.byte	0                               ; EOM(2)
	.byte	3                               ; Abbreviation Code
	.byte	46                              ; DW_TAG_subprogram
	.byte	1                               ; DW_CHILDREN_yes
	.byte	17                              ; DW_AT_low_pc
	.byte	1                               ; DW_FORM_addr
	.byte	18                              ; DW_AT_high_pc
	.byte	6                               ; DW_FORM_data4
	.byte	49                              ; DW_AT_abstract_origin
	.byte	19                              ; DW_FORM_ref4
	.byte	0                               ; EOM(1)
	.byte	0                               ; EOM(2)
	.byte	4                               ; Abbreviation Code
	.byte	29                              ; DW_TAG_inlined_subroutine
	.byte	1                               ; DW_CHILDREN_yes
	.byte	49                              ; DW_AT_abstract_origin
	.byte	19                              ; DW_FORM_ref4
	.byte	85                              ; DW_AT_ranges
	.byte	23                              ; DW_FORM_sec_offset
	.byte	88                              ; DW_AT_call_file
	.byte	11                              ; DW_FORM_data1
	.byte	89                              ; DW_AT_call_line
	.byte	11                              ; DW_FORM_data1
	.byte	87                              ; DW_AT_call_column
	.byte	11                              ; DW_FORM_data1
	.byte	0                               ; EOM(1)
	.byte	0                               ; EOM(2)
	.byte	5                               ; Abbreviation Code
	.byte	29                              ; DW_TAG_inlined_subroutine
	.byte	0                               ; DW_CHILDREN_no
	.byte	49                              ; DW_AT_abstract_origin
	.byte	19                              ; DW_FORM_ref4
	.byte	85                              ; DW_AT_ranges
	.byte	23                              ; DW_FORM_sec_offset
	.byte	88                              ; DW_AT_call_file
	.byte	11                              ; DW_FORM_data1
	.byte	89                              ; DW_AT_call_line
	.byte	5                               ; DW_FORM_data2
	.byte	87                              ; DW_AT_call_column
	.byte	11                              ; DW_FORM_data1
	.byte	0                               ; EOM(1)
	.byte	0                               ; EOM(2)
	.byte	6                               ; Abbreviation Code
	.byte	29                              ; DW_TAG_inlined_subroutine
	.byte	0                               ; DW_CHILDREN_no
	.byte	49                              ; DW_AT_abstract_origin
	.byte	19                              ; DW_FORM_ref4
	.byte	85                              ; DW_AT_ranges
	.byte	23                              ; DW_FORM_sec_offset
	.byte	88                              ; DW_AT_call_file
	.byte	11                              ; DW_FORM_data1
	.byte	89                              ; DW_AT_call_line
	.byte	11                              ; DW_FORM_data1
	.byte	87                              ; DW_AT_call_column
	.byte	11                              ; DW_FORM_data1
	.byte	0                               ; EOM(1)
	.byte	0                               ; EOM(2)
	;; [unrolled: 1-line block ×3, first 2 shown]
	.section	.debug_info,"",@progbits
.Lcu_begin0:
	.long	.Ldebug_info_end0-.Ldebug_info_start0 ; Length of Unit
.Ldebug_info_start0:
	.short	4                               ; DWARF version number
	.long	.debug_abbrev                   ; Offset Into Abbrev. Section
	.byte	8                               ; Address Size (in bytes)
	.byte	1                               ; Abbrev [1] 0xb:0x5e DW_TAG_compile_unit
	.long	.Linfo_string0                  ; DW_AT_producer
	.short	2                               ; DW_AT_language
	.long	.Linfo_string1                  ; DW_AT_name
	.long	.Lline_table_start0             ; DW_AT_stmt_list
	.long	.Linfo_string2                  ; DW_AT_comp_dir
	.quad	.Lfunc_begin0                   ; DW_AT_low_pc
	.long	.Lfunc_end0-.Lfunc_begin0       ; DW_AT_high_pc
	.byte	2                               ; Abbrev [2] 0x2a:0x6 DW_TAG_subprogram
	.long	.Linfo_string3                  ; DW_AT_name
	.byte	1                               ; DW_AT_inline
	.byte	3                               ; Abbrev [3] 0x30:0x38 DW_TAG_subprogram
	.quad	.Lfunc_begin0                   ; DW_AT_low_pc
	.long	.Lfunc_end0-.Lfunc_begin0       ; DW_AT_high_pc
	.long	42                              ; DW_AT_abstract_origin
	.byte	4                               ; Abbrev [4] 0x41:0x1a DW_TAG_inlined_subroutine
	.long	42                              ; DW_AT_abstract_origin
	.long	.Ldebug_ranges0                 ; DW_AT_ranges
	.byte	1                               ; DW_AT_call_file
	.byte	94                              ; DW_AT_call_line
	.byte	20                              ; DW_AT_call_column
	.byte	5                               ; Abbrev [5] 0x4d:0xd DW_TAG_inlined_subroutine
	.long	42                              ; DW_AT_abstract_origin
	.long	.Ldebug_ranges1                 ; DW_AT_ranges
	.byte	2                               ; DW_AT_call_file
	.short	293                             ; DW_AT_call_line
	.byte	36                              ; DW_AT_call_column
	.byte	0                               ; End Of Children Mark
	.byte	6                               ; Abbrev [6] 0x5b:0xc DW_TAG_inlined_subroutine
	.long	42                              ; DW_AT_abstract_origin
	.long	.Ldebug_ranges2                 ; DW_AT_ranges
	.byte	1                               ; DW_AT_call_file
	.byte	93                              ; DW_AT_call_line
	.byte	20                              ; DW_AT_call_column
	.byte	0                               ; End Of Children Mark
	.byte	0                               ; End Of Children Mark
.Ldebug_info_end0:
	.section	.debug_ranges,"",@progbits
.Ldebug_ranges0:
	.quad	.Ltmp1-.Lfunc_begin0
	.quad	.Ltmp2-.Lfunc_begin0
	;; [unrolled: 1-line block ×40, first 2 shown]
	.quad	0
	.quad	0
.Ldebug_ranges1:
	.quad	.Ltmp1-.Lfunc_begin0
	.quad	.Ltmp2-.Lfunc_begin0
	;; [unrolled: 1-line block ×36, first 2 shown]
	.quad	0
	.quad	0
.Ldebug_ranges2:
	.quad	.Ltmp2-.Lfunc_begin0
	.quad	.Ltmp3-.Lfunc_begin0
	;; [unrolled: 1-line block ×36, first 2 shown]
	.quad	0
	.quad	0
	.section	.debug_str,"MS",@progbits,1
.Linfo_string0:
	.asciz	"triton"                        ; string offset=0
.Linfo_string1:
	.asciz	"layer_norm_bwd.py"             ; string offset=7
.Linfo_string2:
	.asciz	"/root/src/amdgpu-assembly/repos/triton-lang__triton-aot" ; string offset=25
.Linfo_string3:
	.asciz	"_layer_norm_bwd_dwdb"          ; string offset=81
	.section	".note.GNU-stack","",@progbits
	.amdgpu_metadata
---
amdhsa.kernels:
  - .args:
      - .address_space:  global
        .offset:         0
        .size:           8
        .value_kind:     global_buffer
      - .address_space:  global
        .offset:         8
        .size:           8
        .value_kind:     global_buffer
      - .address_space:  global
        .offset:         16
        .size:           8
        .value_kind:     global_buffer
      - .address_space:  global
        .offset:         24
        .size:           8
        .value_kind:     global_buffer
      - .offset:         32
        .size:           4
        .value_kind:     by_value
      - .offset:         36
        .size:           4
        .value_kind:     by_value
      - .address_space:  global
        .offset:         40
        .size:           8
        .value_kind:     global_buffer
      - .address_space:  global
        .offset:         48
        .size:           8
        .value_kind:     global_buffer
    .group_segment_fixed_size: 0
    .kernarg_segment_align: 8
    .kernarg_segment_size: 56
    .max_flat_workgroup_size: 256
    .name:           _layer_norm_bwd_dwdb
    .private_segment_fixed_size: 300
    .sgpr_count:     107
    .sgpr_spill_count: 54
    .symbol:         _layer_norm_bwd_dwdb.kd
    .uniform_work_group_size: 1
    .uses_dynamic_stack: false
    .vgpr_count:     256
    .vgpr_spill_count: 140
    .wavefront_size: 32
    .workgroup_processor_mode: 1
amdhsa.target:   amdgcn-amd-amdhsa--gfx1201
amdhsa.version:
  - 1
  - 2
...

	.end_amdgpu_metadata
	.section	.debug_line,"",@progbits
.Lline_table_start0:
